;; amdgpu-corpus repo=ROCm/rocFFT kind=compiled arch=gfx906 opt=O3
	.text
	.amdgcn_target "amdgcn-amd-amdhsa--gfx906"
	.amdhsa_code_object_version 6
	.protected	bluestein_single_back_len1750_dim1_sp_op_CI_CI ; -- Begin function bluestein_single_back_len1750_dim1_sp_op_CI_CI
	.globl	bluestein_single_back_len1750_dim1_sp_op_CI_CI
	.p2align	8
	.type	bluestein_single_back_len1750_dim1_sp_op_CI_CI,@function
bluestein_single_back_len1750_dim1_sp_op_CI_CI: ; @bluestein_single_back_len1750_dim1_sp_op_CI_CI
; %bb.0:
	s_load_dwordx4 s[16:19], s[4:5], 0x28
	v_mul_u32_u24_e32 v1, 0x177, v0
	v_add_u32_sdwa v88, s6, v1 dst_sel:DWORD dst_unused:UNUSED_PAD src0_sel:DWORD src1_sel:WORD_1
	v_mov_b32_e32 v89, 0
	s_waitcnt lgkmcnt(0)
	v_cmp_gt_u64_e32 vcc, s[16:17], v[88:89]
	s_and_saveexec_b64 s[0:1], vcc
	s_cbranch_execz .LBB0_10
; %bb.1:
	s_load_dwordx4 s[0:3], s[4:5], 0x18
	s_load_dwordx4 s[12:15], s[4:5], 0x0
                                        ; implicit-def: $vgpr103
                                        ; implicit-def: $vgpr78
	s_waitcnt lgkmcnt(0)
	s_load_dwordx4 s[8:11], s[0:1], 0x0
	s_movk_i32 s0, 0xaf
	v_mul_lo_u16_sdwa v1, v1, s0 dst_sel:DWORD dst_unused:UNUSED_PAD src0_sel:WORD_1 src1_sel:DWORD
	v_sub_u16_e32 v105, v0, v1
	v_lshlrev_b32_e32 v106, 3, v105
	s_waitcnt lgkmcnt(0)
	v_mad_u64_u32 v[0:1], s[6:7], s10, v88, 0
	v_mad_u64_u32 v[2:3], s[6:7], s8, v105, 0
	s_mul_i32 s1, s9, 0x1b58
	global_load_dwordx2 v[97:98], v106, s[12:13]
	v_mad_u64_u32 v[4:5], s[6:7], s11, v88, v[1:2]
	v_add_u32_e32 v40, 0x2000, v106
	v_add_u32_e32 v36, 0xa00, v106
	v_mad_u64_u32 v[5:6], s[6:7], s9, v105, v[3:4]
	v_mov_b32_e32 v1, v4
	v_lshlrev_b64 v[0:1], 3, v[0:1]
	v_mov_b32_e32 v6, s19
	v_mov_b32_e32 v3, v5
	v_add_co_u32_e32 v4, vcc, s18, v0
	v_addc_co_u32_e32 v5, vcc, v6, v1, vcc
	v_lshlrev_b64 v[0:1], 3, v[2:3]
	v_mov_b32_e32 v2, s13
	v_add_co_u32_e32 v0, vcc, v4, v0
	v_addc_co_u32_e32 v1, vcc, v5, v1, vcc
	v_add_co_u32_e32 v22, vcc, s12, v106
	s_mul_hi_u32 s6, s8, 0x1b58
	v_addc_co_u32_e32 v23, vcc, 0, v2, vcc
	s_add_i32 s1, s6, s1
	s_mul_i32 s6, s8, 0x1b58
	v_mov_b32_e32 v3, s1
	v_add_co_u32_e32 v2, vcc, s6, v0
	v_addc_co_u32_e32 v3, vcc, v1, v3, vcc
	s_movk_i32 s7, 0x1000
	global_load_dwordx2 v[4:5], v[0:1], off
	global_load_dwordx2 v[6:7], v[2:3], off
	v_add_co_u32_e32 v0, vcc, s7, v22
	s_mul_i32 s7, s9, 0xffffea20
	s_mul_hi_u32 s9, s8, 0xffffea20
	s_sub_i32 s9, s9, s8
	v_addc_co_u32_e32 v1, vcc, 0, v23, vcc
	s_add_i32 s7, s9, s7
	s_mulk_i32 s8, 0xea20
	v_mov_b32_e32 v8, s7
	v_add_co_u32_e32 v2, vcc, s8, v2
	v_addc_co_u32_e32 v3, vcc, v3, v8, vcc
	v_mov_b32_e32 v9, s1
	v_add_co_u32_e32 v8, vcc, s6, v2
	v_addc_co_u32_e32 v9, vcc, v3, v9, vcc
	s_movk_i32 s9, 0x2000
	global_load_dwordx2 v[95:96], v[0:1], off offset:2904
	global_load_dwordx2 v[10:11], v[2:3], off
	global_load_dwordx2 v[12:13], v[8:9], off
	v_add_co_u32_e32 v2, vcc, s9, v22
	v_addc_co_u32_e32 v3, vcc, 0, v23, vcc
	v_mov_b32_e32 v14, s7
	v_add_co_u32_e32 v8, vcc, s8, v8
	v_addc_co_u32_e32 v9, vcc, v9, v14, vcc
	global_load_dwordx2 v[91:92], v[2:3], off offset:208
	global_load_dwordx2 v[14:15], v[8:9], off
	global_load_dwordx2 v[99:100], v106, s[12:13] offset:1400
	global_load_dwordx2 v[89:90], v106, s[12:13] offset:2800
	v_mov_b32_e32 v16, s1
	v_add_co_u32_e32 v8, vcc, s6, v8
	v_addc_co_u32_e32 v9, vcc, v9, v16, vcc
	global_load_dwordx2 v[16:17], v[8:9], off
	v_mov_b32_e32 v18, s7
	v_add_co_u32_e32 v8, vcc, s8, v8
	v_addc_co_u32_e32 v9, vcc, v9, v18, vcc
	global_load_dwordx2 v[18:19], v[8:9], off
	global_load_dwordx2 v[86:87], v[0:1], off offset:104
	v_mov_b32_e32 v20, s1
	v_add_co_u32_e32 v8, vcc, s6, v8
	v_addc_co_u32_e32 v9, vcc, v9, v20, vcc
	global_load_dwordx2 v[93:94], v[2:3], off offset:1608
	global_load_dwordx2 v[20:21], v[8:9], off
	global_load_dwordx2 v[84:85], v[2:3], off offset:3008
	v_mov_b32_e32 v3, s7
	v_add_co_u32_e32 v2, vcc, s8, v8
	v_addc_co_u32_e32 v3, vcc, v9, v3, vcc
	global_load_dwordx2 v[8:9], v[2:3], off
	global_load_dwordx2 v[82:83], v[0:1], off offset:1504
	v_mov_b32_e32 v1, s1
	v_add_co_u32_e32 v0, vcc, s6, v2
	v_addc_co_u32_e32 v1, vcc, v3, v1, vcc
	s_movk_i32 s1, 0x3000
	v_add_co_u32_e32 v2, vcc, s1, v22
	v_addc_co_u32_e32 v3, vcc, 0, v23, vcc
	global_load_dwordx2 v[0:1], v[0:1], off
	v_add_u32_e32 v41, 0x2a00, v106
	global_load_dwordx2 v[80:81], v[2:3], off offset:312
	s_load_dwordx4 s[8:11], s[2:3], 0x0
	v_add_u32_e32 v37, 0x1400, v106
	v_add_co_u32_e32 v115, vcc, s0, v105
	v_and_b32_e32 v38, 1, v105
	v_lshlrev_b32_e32 v108, 4, v115
	v_lshlrev_b32_e32 v116, 4, v105
	v_and_b32_e32 v39, 1, v115
	s_waitcnt vmcnt(18)
	v_mul_f32_e32 v2, v5, v98
	v_mul_f32_e32 v3, v4, v98
	v_fmac_f32_e32 v2, v4, v97
	v_fma_f32 v3, v5, v97, -v3
	s_movk_i32 s0, 0xcd
	s_load_dwordx2 s[2:3], s[4:5], 0x38
	s_waitcnt vmcnt(16)
	v_mul_f32_e32 v4, v7, v96
	v_mul_f32_e32 v5, v6, v96
	v_fmac_f32_e32 v4, v6, v95
	v_fma_f32 v5, v7, v95, -v5
	ds_write_b64 v106, v[4:5] offset:7000
	s_waitcnt vmcnt(11)
	v_mul_f32_e32 v4, v11, v100
	v_mul_f32_e32 v5, v10, v100
	v_fmac_f32_e32 v4, v10, v99
	v_fma_f32 v5, v11, v99, -v5
	ds_write2_b64 v106, v[2:3], v[4:5] offset1:175
	v_mul_f32_e32 v2, v13, v92
	v_mul_f32_e32 v3, v12, v92
	v_fmac_f32_e32 v2, v12, v91
	v_fma_f32 v3, v13, v91, -v3
	s_waitcnt vmcnt(10)
	v_mul_f32_e32 v4, v15, v90
	v_mul_f32_e32 v5, v14, v90
	v_fmac_f32_e32 v4, v14, v89
	v_fma_f32 v5, v15, v89, -v5
	s_waitcnt vmcnt(6)
	v_mul_f32_e32 v6, v17, v94
	v_mul_f32_e32 v7, v16, v94
	v_fmac_f32_e32 v6, v16, v93
	v_fma_f32 v7, v17, v93, -v7
	ds_write2_b64 v40, v[2:3], v[6:7] offset0:26 offset1:201
	v_mul_f32_e32 v2, v19, v87
	v_mul_f32_e32 v3, v18, v87
	v_fmac_f32_e32 v2, v18, v86
	v_fma_f32 v3, v19, v86, -v3
	ds_write2_b64 v36, v[4:5], v[2:3] offset0:30 offset1:205
	s_waitcnt vmcnt(2)
	v_mul_f32_e32 v4, v9, v83
	v_mul_f32_e32 v5, v8, v83
	v_fmac_f32_e32 v4, v8, v82
	v_fma_f32 v5, v9, v82, -v5
	ds_write_b64 v106, v[4:5] offset:5600
	v_mul_f32_e32 v2, v21, v85
	v_mul_f32_e32 v3, v20, v85
	v_fmac_f32_e32 v2, v20, v84
	v_fma_f32 v3, v21, v84, -v3
	s_waitcnt vmcnt(0)
	v_mul_f32_e32 v4, v1, v81
	v_fmac_f32_e32 v4, v0, v80
	v_mul_f32_e32 v0, v0, v81
	v_fma_f32 v5, v1, v80, -v0
	ds_write2_b64 v41, v[2:3], v[4:5] offset0:56 offset1:231
	s_waitcnt lgkmcnt(0)
	s_barrier
	ds_read2_b64 v[0:3], v106 offset1:175
	ds_read2_b64 v[4:7], v37 offset0:60 offset1:235
	ds_read2_b64 v[8:11], v40 offset0:26 offset1:201
	;; [unrolled: 1-line block ×4, first 2 shown]
	s_waitcnt lgkmcnt(0)
	s_barrier
	v_sub_f32_e32 v8, v2, v8
	v_sub_f32_e32 v22, v0, v6
	;; [unrolled: 1-line block ×3, first 2 shown]
	v_fma_f32 v6, v2, 2.0, -v8
	v_sub_f32_e32 v2, v12, v10
	v_sub_f32_e32 v23, v1, v7
	v_fma_f32 v20, v0, 2.0, -v22
	v_fma_f32 v7, v3, 2.0, -v9
	v_sub_f32_e32 v3, v13, v11
	v_fma_f32 v0, v12, 2.0, -v2
	v_sub_f32_e32 v12, v14, v16
	v_sub_f32_e32 v16, v4, v18
	v_fma_f32 v21, v1, 2.0, -v23
	v_fma_f32 v1, v13, 2.0, -v3
	v_sub_f32_e32 v13, v15, v17
	v_fma_f32 v10, v14, 2.0, -v12
	v_fma_f32 v14, v4, 2.0, -v16
	v_lshlrev_b16_e32 v4, 1, v105
	v_fma_f32 v11, v15, 2.0, -v13
	v_sub_f32_e32 v17, v5, v19
	v_lshlrev_b32_e32 v107, 3, v4
	v_lshlrev_b32_e32 v4, 5, v38
	v_fma_f32 v15, v5, 2.0, -v17
	ds_write_b128 v107, v[20:23]
	ds_write_b128 v108, v[6:9]
	ds_write_b128 v116, v[0:3] offset:5600
	ds_write_b128 v116, v[10:13] offset:8400
	;; [unrolled: 1-line block ×3, first 2 shown]
	s_waitcnt lgkmcnt(0)
	s_barrier
	global_load_dwordx4 v[8:11], v4, s[14:15]
	global_load_dwordx4 v[0:3], v4, s[14:15] offset:16
	v_lshlrev_b32_e32 v16, 5, v39
	global_load_dwordx4 v[12:15], v16, s[14:15]
	global_load_dwordx4 v[4:7], v16, s[14:15] offset:16
	ds_read2_b64 v[16:19], v36 offset0:30 offset1:205
	ds_read2_b64 v[20:23], v106 offset1:175
	ds_read2_b64 v[24:27], v37 offset0:60 offset1:235
	ds_read2_b64 v[28:31], v40 offset0:26 offset1:201
	;; [unrolled: 1-line block ×3, first 2 shown]
	s_waitcnt vmcnt(0) lgkmcnt(0)
	s_barrier
	v_mul_f32_e32 v42, v17, v9
	v_fma_f32 v42, v16, v8, -v42
	v_mul_f32_e32 v43, v16, v9
	v_mul_f32_e32 v16, v25, v11
	v_fma_f32 v44, v24, v10, -v16
	v_mul_f32_e32 v45, v24, v11
	v_mul_f32_e32 v16, v29, v1
	v_fmac_f32_e32 v45, v25, v10
	v_fma_f32 v25, v28, v0, -v16
	v_mul_f32_e32 v16, v33, v3
	v_fma_f32 v47, v32, v2, -v16
	v_mul_f32_e32 v32, v32, v3
	v_mul_f32_e32 v16, v19, v13
	v_fmac_f32_e32 v32, v33, v2
	v_fma_f32 v33, v18, v12, -v16
	v_mul_f32_e32 v16, v27, v15
	v_fma_f32 v49, v26, v14, -v16
	v_mul_f32_e32 v16, v31, v5
	;; [unrolled: 2-line block ×3, first 2 shown]
	v_mul_f32_e32 v16, v35, v7
	v_fmac_f32_e32 v52, v31, v4
	v_fma_f32 v31, v34, v6, -v16
	v_add_f32_e32 v16, v44, v25
	v_fmac_f32_e32 v43, v17, v8
	v_mul_f32_e32 v46, v28, v1
	v_fma_f32 v16, -0.5, v16, v20
	v_fmac_f32_e32 v46, v29, v0
	v_mul_f32_e32 v48, v18, v13
	v_sub_f32_e32 v17, v43, v32
	v_mov_b32_e32 v18, v16
	v_fmac_f32_e32 v48, v19, v12
	v_mul_f32_e32 v50, v26, v15
	v_fmac_f32_e32 v18, 0x3f737871, v17
	v_sub_f32_e32 v19, v45, v46
	v_sub_f32_e32 v24, v42, v44
	v_sub_f32_e32 v26, v47, v25
	v_fmac_f32_e32 v16, 0xbf737871, v17
	v_fmac_f32_e32 v18, 0x3f167918, v19
	v_add_f32_e32 v24, v24, v26
	v_fmac_f32_e32 v16, 0xbf167918, v19
	v_fmac_f32_e32 v18, 0x3e9e377a, v24
	;; [unrolled: 1-line block ×3, first 2 shown]
	v_add_f32_e32 v24, v42, v47
	v_fmac_f32_e32 v50, v27, v14
	v_fma_f32 v24, -0.5, v24, v20
	v_sub_f32_e32 v26, v44, v42
	v_sub_f32_e32 v27, v25, v47
	v_add_f32_e32 v27, v26, v27
	v_mov_b32_e32 v26, v24
	v_fmac_f32_e32 v26, 0xbf737871, v19
	v_fmac_f32_e32 v24, 0x3f737871, v19
	;; [unrolled: 1-line block ×4, first 2 shown]
	v_add_f32_e32 v17, v20, v42
	v_add_f32_e32 v17, v17, v44
	;; [unrolled: 1-line block ×8, first 2 shown]
	v_fma_f32 v17, -0.5, v17, v21
	v_add_f32_e32 v29, v19, v32
	v_sub_f32_e32 v20, v42, v47
	v_mov_b32_e32 v19, v17
	v_fmac_f32_e32 v26, 0x3e9e377a, v27
	v_fmac_f32_e32 v24, 0x3e9e377a, v27
	;; [unrolled: 1-line block ×3, first 2 shown]
	v_sub_f32_e32 v30, v44, v25
	v_sub_f32_e32 v25, v43, v45
	;; [unrolled: 1-line block ×3, first 2 shown]
	v_fmac_f32_e32 v17, 0x3f737871, v20
	v_fmac_f32_e32 v19, 0xbf167918, v30
	v_add_f32_e32 v25, v25, v27
	v_fmac_f32_e32 v17, 0x3f167918, v30
	v_fmac_f32_e32 v19, 0x3e9e377a, v25
	;; [unrolled: 1-line block ×3, first 2 shown]
	v_add_f32_e32 v25, v43, v32
	v_fma_f32 v25, -0.5, v25, v21
	v_mov_b32_e32 v27, v25
	v_fmac_f32_e32 v27, 0x3f737871, v30
	v_fmac_f32_e32 v25, 0xbf737871, v30
	v_mul_f32_e32 v53, v34, v7
	v_fmac_f32_e32 v27, 0xbf167918, v20
	v_fmac_f32_e32 v25, 0x3f167918, v20
	v_add_f32_e32 v20, v49, v51
	v_fmac_f32_e32 v53, v35, v6
	v_sub_f32_e32 v21, v45, v43
	v_sub_f32_e32 v32, v46, v32
	v_fma_f32 v20, -0.5, v20, v22
	v_add_f32_e32 v21, v21, v32
	v_sub_f32_e32 v34, v48, v53
	v_mov_b32_e32 v30, v20
	v_sub_f32_e32 v32, v33, v49
	v_sub_f32_e32 v35, v31, v51
	v_fmac_f32_e32 v30, 0x3f737871, v34
	v_add_f32_e32 v32, v32, v35
	v_sub_f32_e32 v35, v50, v52
	v_fmac_f32_e32 v20, 0xbf737871, v34
	v_fmac_f32_e32 v30, 0x3f167918, v35
	;; [unrolled: 1-line block ×5, first 2 shown]
	v_add_f32_e32 v32, v33, v31
	v_fmac_f32_e32 v27, 0x3e9e377a, v21
	v_fmac_f32_e32 v25, 0x3e9e377a, v21
	v_add_f32_e32 v21, v22, v33
	v_fma_f32 v22, -0.5, v32, v22
	v_sub_f32_e32 v32, v49, v33
	v_sub_f32_e32 v42, v51, v31
	v_add_f32_e32 v42, v32, v42
	v_mov_b32_e32 v32, v22
	v_fmac_f32_e32 v32, 0xbf737871, v35
	v_fmac_f32_e32 v22, 0x3f737871, v35
	;; [unrolled: 1-line block ×4, first 2 shown]
	v_add_f32_e32 v21, v21, v49
	v_add_f32_e32 v34, v23, v48
	;; [unrolled: 1-line block ×7, first 2 shown]
	v_fma_f32 v21, -0.5, v21, v23
	v_fmac_f32_e32 v32, 0x3e9e377a, v42
	v_fmac_f32_e32 v22, 0x3e9e377a, v42
	v_sub_f32_e32 v42, v33, v31
	v_mov_b32_e32 v31, v21
	v_fmac_f32_e32 v31, 0xbf737871, v42
	v_sub_f32_e32 v43, v49, v51
	v_sub_f32_e32 v33, v48, v50
	;; [unrolled: 1-line block ×3, first 2 shown]
	v_fmac_f32_e32 v21, 0x3f737871, v42
	v_fmac_f32_e32 v31, 0xbf167918, v43
	v_add_f32_e32 v33, v33, v44
	v_fmac_f32_e32 v21, 0x3f167918, v43
	v_fmac_f32_e32 v31, 0x3e9e377a, v33
	;; [unrolled: 1-line block ×3, first 2 shown]
	v_add_f32_e32 v33, v48, v53
	v_fmac_f32_e32 v23, -0.5, v33
	v_mov_b32_e32 v33, v23
	v_fmac_f32_e32 v33, 0x3f737871, v43
	v_fmac_f32_e32 v23, 0xbf737871, v43
	;; [unrolled: 1-line block ×4, first 2 shown]
	v_lshrrev_b32_e32 v42, 1, v105
	v_mul_u32_u24_e32 v42, 10, v42
	v_or_b32_e32 v38, v42, v38
	v_lshlrev_b32_e32 v111, 3, v38
	ds_write2_b64 v111, v[28:29], v[18:19] offset1:2
	ds_write2_b64 v111, v[26:27], v[24:25] offset0:4 offset1:6
	ds_write_b64 v111, v[16:17] offset:64
	v_lshrrev_b32_e32 v16, 1, v115
	v_mul_u32_u24_e32 v16, 10, v16
	v_or_b32_e32 v16, v16, v39
	v_lshlrev_b32_e32 v112, 3, v16
	v_mul_lo_u16_sdwa v16, v105, s0 dst_sel:DWORD dst_unused:UNUSED_PAD src0_sel:BYTE_0 src1_sel:DWORD
	v_sub_f32_e32 v44, v50, v48
	v_sub_f32_e32 v45, v52, v53
	v_lshrrev_b16_e32 v42, 11, v16
	v_add_f32_e32 v35, v35, v53
	v_add_f32_e32 v44, v44, v45
	v_mul_lo_u16_e32 v16, 10, v42
	s_mov_b32 s0, 0xcccd
	v_fmac_f32_e32 v33, 0x3e9e377a, v44
	v_fmac_f32_e32 v23, 0x3e9e377a, v44
	ds_write2_b64 v112, v[34:35], v[30:31] offset1:2
	ds_write2_b64 v112, v[32:33], v[22:23] offset0:4 offset1:6
	ds_write_b64 v112, v[20:21] offset:64
	v_sub_u16_e32 v16, v105, v16
	v_mul_u32_u24_sdwa v20, v115, s0 dst_sel:DWORD dst_unused:UNUSED_PAD src0_sel:WORD_0 src1_sel:DWORD
	v_and_b32_e32 v43, 0xff, v16
	v_lshrrev_b32_e32 v44, 19, v20
	v_lshlrev_b32_e32 v34, 5, v43
	v_mul_lo_u16_e32 v20, 10, v44
	s_waitcnt lgkmcnt(0)
	s_barrier
	global_load_dwordx4 v[16:19], v34, s[14:15] offset:64
	v_sub_u16_e32 v45, v115, v20
	v_lshlrev_b16_e32 v20, 5, v45
	v_mov_b32_e32 v21, s15
	v_add_co_u32_e32 v32, vcc, s14, v20
	v_addc_co_u32_e32 v33, vcc, 0, v21, vcc
	global_load_dwordx4 v[20:23], v[32:33], off offset:64
	global_load_dwordx4 v[24:27], v34, s[14:15] offset:80
	global_load_dwordx4 v[28:31], v[32:33], off offset:80
	ds_read2_b64 v[32:35], v36 offset0:30 offset1:205
	ds_read2_b64 v[36:39], v37 offset0:60 offset1:235
	ds_read2_b64 v[56:59], v106 offset1:175
	s_movk_i32 s0, 0x4b
	v_cmp_gt_u16_e32 vcc, s0, v105
	s_waitcnt vmcnt(3) lgkmcnt(2)
	v_mul_f32_e32 v46, v33, v17
	v_fma_f32 v46, v32, v16, -v46
	v_mul_f32_e32 v47, v32, v17
	s_waitcnt lgkmcnt(1)
	v_mul_f32_e32 v32, v37, v19
	v_fma_f32 v48, v36, v18, -v32
	v_fmac_f32_e32 v47, v33, v16
	s_waitcnt vmcnt(2)
	v_mul_f32_e32 v32, v35, v21
	v_mul_f32_e32 v51, v34, v21
	v_fma_f32 v50, v34, v20, -v32
	v_fmac_f32_e32 v51, v35, v20
	ds_read2_b64 v[32:35], v40 offset0:26 offset1:201
	v_mul_f32_e32 v49, v36, v19
	v_mul_f32_e32 v36, v39, v23
	v_fma_f32 v40, v38, v22, -v36
	v_mul_f32_e32 v52, v38, v23
	s_waitcnt vmcnt(1) lgkmcnt(0)
	v_mul_f32_e32 v36, v33, v25
	v_fmac_f32_e32 v49, v37, v18
	v_fmac_f32_e32 v52, v39, v22
	v_fma_f32 v53, v32, v24, -v36
	ds_read2_b64 v[36:39], v41 offset0:56 offset1:231
	v_mul_f32_e32 v54, v32, v25
	s_waitcnt vmcnt(0)
	v_mul_f32_e32 v32, v35, v29
	v_fmac_f32_e32 v54, v33, v24
	v_fma_f32 v41, v34, v28, -v32
	s_waitcnt lgkmcnt(0)
	v_mul_f32_e32 v61, v36, v27
	v_mul_f32_e32 v55, v34, v29
	;; [unrolled: 1-line block ×3, first 2 shown]
	v_fmac_f32_e32 v61, v37, v26
	v_fmac_f32_e32 v55, v35, v28
	v_fma_f32 v60, v36, v26, -v32
	v_mul_f32_e32 v32, v39, v31
	v_add_f32_e32 v34, v48, v53
	v_add_f32_e32 v35, v49, v54
	v_sub_f32_e32 v36, v47, v49
	v_sub_f32_e32 v37, v61, v54
	v_fma_f32 v62, v38, v30, -v32
	v_mul_f32_e32 v38, v38, v31
	v_sub_f32_e32 v32, v46, v48
	v_sub_f32_e32 v33, v60, v53
	v_fma_f32 v34, -0.5, v34, v56
	v_fma_f32 v35, -0.5, v35, v57
	v_add_f32_e32 v63, v36, v37
	v_mul_u32_u24_e32 v36, 50, v42
	v_fmac_f32_e32 v38, v39, v30
	v_add_f32_e32 v39, v32, v33
	v_add_f32_e32 v32, v56, v46
	;; [unrolled: 1-line block ×3, first 2 shown]
	v_add_lshl_u32 v113, v36, v43, 3
	v_sub_f32_e32 v42, v47, v61
	v_mov_b32_e32 v36, v34
	v_mov_b32_e32 v37, v35
	v_sub_f32_e32 v64, v46, v60
	v_add_f32_e32 v32, v32, v48
	v_add_f32_e32 v33, v33, v49
	v_fmac_f32_e32 v36, 0x3f737871, v42
	v_sub_f32_e32 v43, v49, v54
	v_fmac_f32_e32 v37, 0xbf737871, v64
	v_sub_f32_e32 v65, v48, v53
	v_add_f32_e32 v32, v32, v53
	v_add_f32_e32 v33, v33, v54
	v_fmac_f32_e32 v36, 0x3f167918, v43
	v_fmac_f32_e32 v37, 0xbf167918, v65
	v_add_f32_e32 v32, v32, v60
	v_add_f32_e32 v33, v33, v61
	v_fmac_f32_e32 v36, 0x3e9e377a, v39
	v_fmac_f32_e32 v37, 0x3e9e377a, v63
	s_barrier
	ds_write2_b64 v113, v[32:33], v[36:37] offset1:10
	v_sub_f32_e32 v32, v48, v46
	v_add_f32_e32 v33, v46, v60
	v_sub_f32_e32 v36, v53, v60
	v_add_f32_e32 v37, v32, v36
	v_fma_f32 v32, -0.5, v33, v56
	v_mov_b32_e32 v36, v32
	v_fmac_f32_e32 v36, 0xbf737871, v43
	v_fmac_f32_e32 v32, 0x3f737871, v43
	;; [unrolled: 1-line block ×4, first 2 shown]
	v_add_f32_e32 v33, v47, v61
	v_fmac_f32_e32 v36, 0x3e9e377a, v37
	v_fmac_f32_e32 v32, 0x3e9e377a, v37
	v_fma_f32 v33, -0.5, v33, v57
	v_sub_f32_e32 v37, v49, v47
	v_sub_f32_e32 v46, v54, v61
	v_add_f32_e32 v46, v37, v46
	v_mov_b32_e32 v37, v33
	v_fmac_f32_e32 v37, 0x3f737871, v65
	v_fmac_f32_e32 v33, 0xbf737871, v65
	;; [unrolled: 1-line block ×6, first 2 shown]
	ds_write2_b64 v113, v[36:37], v[32:33] offset0:20 offset1:30
	v_sub_f32_e32 v32, v50, v40
	v_sub_f32_e32 v33, v62, v41
	v_add_f32_e32 v33, v32, v33
	v_add_f32_e32 v32, v40, v41
	v_fma_f32 v60, -0.5, v32, v58
	v_fmac_f32_e32 v34, 0xbf737871, v42
	v_sub_f32_e32 v36, v51, v38
	v_mov_b32_e32 v32, v60
	v_fmac_f32_e32 v34, 0xbf167918, v43
	v_fmac_f32_e32 v32, 0x3f737871, v36
	v_sub_f32_e32 v37, v52, v55
	v_fmac_f32_e32 v60, 0xbf737871, v36
	v_fmac_f32_e32 v34, 0x3e9e377a, v39
	;; [unrolled: 1-line block ×4, first 2 shown]
	v_add_f32_e32 v39, v50, v62
	v_fmac_f32_e32 v32, 0x3e9e377a, v33
	v_fmac_f32_e32 v60, 0x3e9e377a, v33
	v_add_f32_e32 v33, v58, v50
	v_fma_f32 v58, -0.5, v39, v58
	v_mov_b32_e32 v56, v58
	v_fmac_f32_e32 v56, 0xbf737871, v37
	v_fmac_f32_e32 v58, 0x3f737871, v37
	;; [unrolled: 1-line block ×4, first 2 shown]
	v_add_f32_e32 v33, v33, v40
	v_add_f32_e32 v36, v59, v51
	;; [unrolled: 1-line block ×4, first 2 shown]
	v_sub_f32_e32 v39, v40, v50
	v_sub_f32_e32 v42, v41, v62
	v_add_f32_e32 v37, v36, v55
	v_add_f32_e32 v36, v33, v62
	;; [unrolled: 1-line block ×4, first 2 shown]
	v_fma_f32 v61, -0.5, v33, v59
	v_sub_f32_e32 v40, v40, v41
	v_sub_f32_e32 v33, v51, v52
	;; [unrolled: 1-line block ×3, first 2 shown]
	v_fmac_f32_e32 v56, 0x3e9e377a, v39
	v_fmac_f32_e32 v58, 0x3e9e377a, v39
	v_sub_f32_e32 v39, v50, v62
	v_add_f32_e32 v41, v33, v41
	v_mov_b32_e32 v33, v61
	v_fmac_f32_e32 v33, 0xbf737871, v39
	v_fmac_f32_e32 v61, 0x3f737871, v39
	;; [unrolled: 1-line block ×7, first 2 shown]
	v_add_f32_e32 v41, v51, v38
	v_fmac_f32_e32 v35, 0x3f167918, v65
	v_fmac_f32_e32 v59, -0.5, v41
	v_fmac_f32_e32 v35, 0x3e9e377a, v63
	v_mov_b32_e32 v57, v59
	v_add_f32_e32 v37, v37, v38
	v_sub_f32_e32 v41, v52, v51
	v_sub_f32_e32 v38, v55, v38
	v_fmac_f32_e32 v57, 0x3f737871, v40
	v_fmac_f32_e32 v59, 0xbf737871, v40
	ds_write_b64 v113, v[34:35] offset:320
	v_mad_legacy_u16 v34, v44, 50, v45
	v_add_f32_e32 v38, v41, v38
	v_fmac_f32_e32 v57, 0xbf167918, v39
	v_fmac_f32_e32 v59, 0x3f167918, v39
	v_lshlrev_b32_e32 v114, 3, v34
	v_fmac_f32_e32 v57, 0x3e9e377a, v38
	v_fmac_f32_e32 v59, 0x3e9e377a, v38
	ds_write2_b64 v114, v[36:37], v[32:33] offset1:10
	ds_write2_b64 v114, v[56:57], v[58:59] offset0:20 offset1:30
	ds_write_b64 v114, v[60:61] offset:320
	v_add_u32_e32 v32, 0xf80, v106
	s_waitcnt lgkmcnt(0)
	s_barrier
	ds_read2_b64 v[68:71], v32 offset0:4 offset1:254
	v_add_u32_e32 v32, 0x1f40, v106
	ds_read_b64 v[101:102], v106 offset:12000
	ds_read2_b64 v[72:75], v32 offset1:250
	ds_read2_b64 v[64:67], v106 offset1:250
	s_and_saveexec_b64 s[0:1], vcc
	s_cbranch_execz .LBB0_3
; %bb.2:
	v_add_u32_e32 v32, 0x560, v106
	ds_read2_b64 v[56:59], v32 offset0:3 offset1:253
	v_add_u32_e32 v32, 0x1500, v106
	ds_read2_b64 v[60:63], v32 offset0:3 offset1:253
	;; [unrolled: 2-line block ×3, first 2 shown]
	ds_read_b64 v[103:104], v106 offset:13400
.LBB0_3:
	s_or_b64 exec, exec, s[0:1]
	v_lshrrev_b16_e32 v32, 1, v115
	v_mul_u32_u24_e32 v32, 0x147b, v32
	v_lshrrev_b32_e32 v109, 17, v32
	v_mul_lo_u16_e32 v32, 50, v109
	v_sub_u16_e32 v110, v115, v32
	v_mul_lo_u16_e32 v32, 48, v110
	v_mov_b32_e32 v33, s15
	v_add_co_u32_e64 v44, s[0:1], s14, v32
	v_addc_co_u32_e64 v45, s[0:1], 0, v33, s[0:1]
	global_load_dwordx4 v[36:39], v[44:45], off offset:400
	global_load_dwordx4 v[32:35], v[44:45], off offset:416
	global_load_dwordx4 v[40:43], v[44:45], off offset:384
	v_mov_b32_e32 v44, 41
	v_mul_lo_u16_sdwa v44, v105, v44 dst_sel:DWORD dst_unused:UNUSED_PAD src0_sel:BYTE_0 src1_sel:DWORD
	v_lshrrev_b16_e32 v125, 11, v44
	v_mul_lo_u16_e32 v44, 50, v125
	v_sub_u16_e32 v44, v105, v44
	v_and_b32_e32 v126, 0xff, v44
	v_mad_u64_u32 v[117:118], s[0:1], v126, 48, s[14:15]
	global_load_dwordx4 v[52:55], v[117:118], off offset:384
	global_load_dwordx4 v[48:51], v[117:118], off offset:400
	;; [unrolled: 1-line block ×3, first 2 shown]
	s_mov_b32 s0, 0x3f5ff5aa
	s_mov_b32 s1, 0x3f3bfb3b
	;; [unrolled: 1-line block ×4, first 2 shown]
	v_add_u32_e32 v118, 0x15e0, v116
	v_add_u32_e32 v117, 0x20d0, v116
	;; [unrolled: 1-line block ×3, first 2 shown]
	s_waitcnt vmcnt(0) lgkmcnt(0)
	s_barrier
	v_mul_f32_e32 v127, v62, v37
	v_mul_f32_e32 v120, v77, v39
	;; [unrolled: 1-line block ×12, first 2 shown]
	v_fmac_f32_e32 v127, v63, v36
	v_fma_f32 v63, v76, v38, -v120
	v_fmac_f32_e32 v128, v77, v38
	v_fma_f32 v76, v78, v32, -v121
	;; [unrolled: 2-line block ×3, first 2 shown]
	v_fma_f32 v58, v58, v40, -v123
	v_fmac_f32_e32 v131, v59, v40
	v_fma_f32 v59, v60, v42, -v124
	v_fmac_f32_e32 v132, v61, v42
	v_mul_f32_e32 v60, v67, v53
	v_mul_f32_e32 v61, v66, v53
	;; [unrolled: 1-line block ×7, first 2 shown]
	v_fma_f32 v62, v62, v36, -v119
	v_fmac_f32_e32 v130, v104, v34
	v_mul_f32_e32 v104, v70, v49
	v_mul_f32_e32 v119, v73, v51
	;; [unrolled: 1-line block ×4, first 2 shown]
	v_fma_f32 v60, v66, v52, -v60
	v_fmac_f32_e32 v61, v67, v52
	v_fma_f32 v66, v68, v54, -v78
	v_fmac_f32_e32 v79, v69, v54
	v_fma_f32 v67, v70, v48, -v103
	v_fma_f32 v69, v74, v44, -v121
	;; [unrolled: 1-line block ×3, first 2 shown]
	v_mul_f32_e32 v120, v72, v51
	v_fmac_f32_e32 v104, v71, v48
	v_fma_f32 v68, v72, v50, -v119
	v_fmac_f32_e32 v122, v75, v44
	v_fmac_f32_e32 v124, v102, v46
	v_add_f32_e32 v71, v60, v70
	v_sub_f32_e32 v60, v60, v70
	v_add_f32_e32 v70, v66, v69
	v_fmac_f32_e32 v120, v73, v50
	v_add_f32_e32 v72, v61, v124
	v_add_f32_e32 v73, v79, v122
	;; [unrolled: 1-line block ×4, first 2 shown]
	v_sub_f32_e32 v66, v66, v69
	v_sub_f32_e32 v69, v79, v122
	v_add_f32_e32 v75, v104, v120
	v_sub_f32_e32 v67, v68, v67
	v_add_f32_e32 v79, v73, v72
	v_sub_f32_e32 v101, v70, v71
	v_sub_f32_e32 v71, v71, v74
	v_sub_f32_e32 v70, v74, v70
	v_add_f32_e32 v74, v74, v78
	v_sub_f32_e32 v102, v73, v72
	v_sub_f32_e32 v72, v72, v75
	;; [unrolled: 4-line block ×3, first 2 shown]
	v_add_f32_e32 v75, v75, v79
	v_add_f32_e32 v66, v64, v74
	v_sub_f32_e32 v121, v60, v67
	v_add_f32_e32 v67, v65, v75
	v_mul_f32_e32 v78, 0xbf08b237, v119
	v_mov_b32_e32 v119, v66
	v_sub_f32_e32 v61, v61, v124
	v_sub_f32_e32 v68, v120, v104
	v_mul_f32_e32 v64, 0x3f4a47b2, v71
	v_mul_f32_e32 v65, 0x3f4a47b2, v72
	;; [unrolled: 1-line block ×3, first 2 shown]
	v_fmac_f32_e32 v119, 0xbf955555, v74
	v_mov_b32_e32 v74, v67
	v_add_f32_e32 v104, v68, v69
	v_sub_f32_e32 v120, v68, v69
	v_sub_f32_e32 v69, v69, v61
	v_add_f32_e32 v60, v103, v60
	v_mul_f32_e32 v72, 0x3d64c772, v73
	v_mul_f32_e32 v103, 0x3f5ff5aa, v122
	v_fmac_f32_e32 v74, 0xbf955555, v75
	v_fma_f32 v71, v101, s1, -v71
	v_fma_f32 v75, v101, s4, -v64
	v_fmac_f32_e32 v64, 0x3d64c772, v70
	v_fma_f32 v70, v102, s4, -v65
	v_fmac_f32_e32 v65, 0x3d64c772, v73
	;; [unrolled: 2-line block ×3, first 2 shown]
	v_sub_f32_e32 v68, v61, v68
	v_add_f32_e32 v61, v104, v61
	v_mul_f32_e32 v79, 0xbf08b237, v120
	v_mul_f32_e32 v104, 0x3f5ff5aa, v69
	v_fma_f32 v72, v102, s1, -v72
	v_fma_f32 v103, v121, s5, -v103
	v_add_f32_e32 v65, v65, v74
	v_fmac_f32_e32 v78, 0x3ee1c552, v60
	v_fma_f32 v102, v69, s0, -v79
	v_fmac_f32_e32 v79, 0x3eae86e6, v68
	v_fma_f32 v104, v68, s5, -v104
	v_add_f32_e32 v121, v72, v74
	v_add_f32_e32 v74, v70, v74
	v_fmac_f32_e32 v101, 0x3ee1c552, v60
	v_fmac_f32_e32 v103, 0x3ee1c552, v60
	v_sub_f32_e32 v69, v65, v78
	v_add_f32_e32 v124, v78, v65
	v_add_f32_e32 v60, v58, v77
	;; [unrolled: 1-line block ×6, first 2 shown]
	v_fmac_f32_e32 v79, 0x3ee1c552, v61
	v_fmac_f32_e32 v102, 0x3ee1c552, v61
	;; [unrolled: 1-line block ×3, first 2 shown]
	v_sub_f32_e32 v71, v74, v103
	v_add_f32_e32 v122, v103, v74
	v_add_f32_e32 v61, v131, v130
	;; [unrolled: 1-line block ×3, first 2 shown]
	v_sub_f32_e32 v59, v59, v76
	v_add_f32_e32 v76, v62, v63
	v_add_f32_e32 v78, v65, v60
	;; [unrolled: 1-line block ×4, first 2 shown]
	v_sub_f32_e32 v72, v120, v102
	v_add_f32_e32 v73, v101, v121
	v_add_f32_e32 v119, v102, v120
	v_sub_f32_e32 v120, v121, v101
	v_sub_f32_e32 v121, v75, v104
	;; [unrolled: 1-line block ×5, first 2 shown]
	v_add_f32_e32 v77, v127, v128
	v_sub_f32_e32 v62, v63, v62
	v_sub_f32_e32 v63, v128, v127
	v_add_f32_e32 v79, v74, v61
	v_sub_f32_e32 v101, v65, v60
	v_sub_f32_e32 v60, v60, v76
	;; [unrolled: 1-line block ×3, first 2 shown]
	v_add_f32_e32 v76, v76, v78
	v_sub_f32_e32 v102, v74, v61
	v_sub_f32_e32 v61, v61, v77
	;; [unrolled: 1-line block ×4, first 2 shown]
	v_add_f32_e32 v77, v77, v79
	v_add_f32_e32 v56, v56, v76
	v_sub_f32_e32 v64, v131, v130
	v_add_f32_e32 v103, v62, v59
	v_add_f32_e32 v104, v63, v75
	v_sub_f32_e32 v127, v62, v59
	v_sub_f32_e32 v129, v59, v58
	v_add_f32_e32 v57, v57, v77
	v_mul_f32_e32 v59, 0xbf08b237, v128
	v_mov_b32_e32 v128, v56
	v_sub_f32_e32 v62, v58, v62
	v_sub_f32_e32 v63, v64, v63
	;; [unrolled: 1-line block ×3, first 2 shown]
	v_add_f32_e32 v78, v103, v58
	v_add_f32_e32 v79, v104, v64
	v_mul_f32_e32 v60, 0x3f4a47b2, v60
	v_mul_f32_e32 v64, 0x3f4a47b2, v61
	;; [unrolled: 1-line block ×5, first 2 shown]
	v_fmac_f32_e32 v128, 0xbf955555, v76
	v_mov_b32_e32 v76, v57
	v_mul_f32_e32 v104, 0x3f5ff5aa, v129
	v_mul_f32_e32 v127, 0x3f5ff5aa, v75
	v_fmac_f32_e32 v76, 0xbf955555, v77
	v_fma_f32 v77, v101, s1, -v61
	v_fma_f32 v103, v102, s1, -v103
	v_fma_f32 v101, v101, s4, -v60
	v_fmac_f32_e32 v60, 0x3d64c772, v65
	v_fma_f32 v65, v102, s4, -v64
	v_fma_f32 v102, v129, s0, -v58
	;; [unrolled: 1-line block ×3, first 2 shown]
	v_fmac_f32_e32 v64, 0x3d64c772, v74
	v_fmac_f32_e32 v58, 0x3eae86e6, v62
	;; [unrolled: 1-line block ×3, first 2 shown]
	v_fma_f32 v61, v62, s5, -v104
	v_fma_f32 v62, v63, s5, -v127
	v_add_f32_e32 v77, v77, v128
	v_add_f32_e32 v103, v103, v76
	v_fmac_f32_e32 v102, 0x3ee1c552, v78
	v_fmac_f32_e32 v129, 0x3ee1c552, v79
	v_add_f32_e32 v60, v60, v128
	v_add_f32_e32 v63, v64, v76
	;; [unrolled: 1-line block ×4, first 2 shown]
	v_fmac_f32_e32 v58, 0x3ee1c552, v78
	v_fmac_f32_e32 v59, 0x3ee1c552, v79
	;; [unrolled: 1-line block ×4, first 2 shown]
	v_sub_f32_e32 v74, v77, v129
	v_add_f32_e32 v75, v102, v103
	v_add_f32_e32 v76, v129, v77
	v_sub_f32_e32 v77, v103, v102
	v_mul_u32_u24_e32 v103, 0x15e, v125
	v_sub_f32_e32 v78, v64, v62
	v_add_f32_e32 v79, v61, v65
	v_sub_f32_e32 v101, v60, v59
	v_add_f32_e32 v102, v58, v63
	s_movk_i32 s4, 0x15e
	v_add_lshl_u32 v103, v103, v126, 3
	ds_write2_b64 v103, v[66:67], v[68:69] offset1:50
	ds_write2_b64 v103, v[70:71], v[72:73] offset0:100 offset1:150
	ds_write2_b64 v103, v[119:120], v[121:122] offset0:200 offset1:250
	ds_write_b64 v103, v[123:124] offset:2400
	s_and_saveexec_b64 s[0:1], vcc
	s_cbranch_execz .LBB0_5
; %bb.4:
	v_sub_f32_e32 v65, v65, v61
	v_sub_f32_e32 v61, v63, v58
	v_mad_legacy_u16 v58, v109, s4, v110
	v_add_f32_e32 v60, v59, v60
	v_lshlrev_b32_e32 v58, 3, v58
	v_add_f32_e32 v64, v62, v64
	ds_write2_b64 v58, v[56:57], v[60:61] offset1:50
	ds_write2_b64 v58, v[64:65], v[74:75] offset0:100 offset1:150
	ds_write2_b64 v58, v[76:77], v[78:79] offset0:200 offset1:250
	ds_write_b64 v58, v[101:102] offset:2400
.LBB0_5:
	s_or_b64 exec, exec, s[0:1]
	v_lshlrev_b32_e32 v60, 5, v105
	s_waitcnt lgkmcnt(0)
	s_barrier
	global_load_dwordx4 v[64:67], v60, s[14:15] offset:2784
	global_load_dwordx4 v[56:59], v60, s[14:15] offset:2800
	v_lshlrev_b32_e32 v72, 5, v115
	global_load_dwordx4 v[68:71], v72, s[14:15] offset:2784
	global_load_dwordx4 v[60:63], v72, s[14:15] offset:2800
	v_lshlrev_b32_e32 v127, 3, v105
	v_add_u32_e32 v115, 0xa00, v106
	v_mov_b32_e32 v128, s13
	v_add_u32_e32 v104, 0x1400, v106
	ds_read2_b64 v[123:126], v115 offset0:30 offset1:205
	v_add_co_u32_e64 v139, s[0:1], s12, v127
	ds_read2_b64 v[119:122], v106 offset1:175
	v_add_u32_e32 v73, 0x2000, v106
	v_add_u32_e32 v72, 0x2a00, v106
	v_addc_co_u32_e64 v140, s[0:1], 0, v128, s[0:1]
	ds_read2_b64 v[127:130], v104 offset0:60 offset1:235
	ds_read2_b64 v[131:134], v73 offset0:26 offset1:201
	;; [unrolled: 1-line block ×3, first 2 shown]
	s_movk_i32 s0, 0x3000
	s_movk_i32 s4, 0x36b0
	s_waitcnt vmcnt(3) lgkmcnt(4)
	v_mul_f32_e32 v141, v124, v65
	s_waitcnt lgkmcnt(2)
	v_mul_f32_e32 v143, v128, v67
	v_mul_f32_e32 v144, v127, v67
	s_waitcnt vmcnt(2) lgkmcnt(1)
	v_mul_f32_e32 v145, v132, v57
	v_mul_f32_e32 v142, v123, v65
	s_waitcnt lgkmcnt(0)
	v_mul_f32_e32 v147, v136, v59
	v_fma_f32 v141, v123, v64, -v141
	v_fma_f32 v143, v127, v66, -v143
	v_fmac_f32_e32 v144, v128, v66
	v_fma_f32 v128, v131, v56, -v145
	v_mul_f32_e32 v146, v131, v57
	v_mul_f32_e32 v148, v135, v59
	s_waitcnt vmcnt(1)
	v_mul_f32_e32 v149, v126, v69
	v_fmac_f32_e32 v142, v124, v64
	v_fma_f32 v131, v135, v58, -v147
	v_add_f32_e32 v123, v119, v141
	v_add_f32_e32 v124, v143, v128
	v_mul_f32_e32 v150, v125, v69
	v_fmac_f32_e32 v148, v136, v58
	v_fma_f32 v136, v125, v68, -v149
	v_sub_f32_e32 v125, v141, v143
	v_sub_f32_e32 v127, v131, v128
	v_add_f32_e32 v135, v123, v143
	v_fma_f32 v123, -0.5, v124, v119
	v_mul_f32_e32 v151, v130, v71
	v_mul_f32_e32 v152, v129, v71
	v_fmac_f32_e32 v146, v132, v56
	v_fmac_f32_e32 v150, v126, v68
	v_sub_f32_e32 v126, v142, v148
	v_add_f32_e32 v124, v125, v127
	v_mov_b32_e32 v125, v123
	v_fma_f32 v145, v129, v70, -v151
	v_fmac_f32_e32 v152, v130, v70
	v_sub_f32_e32 v130, v144, v146
	v_add_f32_e32 v129, v141, v131
	v_fmac_f32_e32 v123, 0xbf737871, v126
	v_fmac_f32_e32 v125, 0x3f737871, v126
	s_waitcnt vmcnt(0)
	v_mul_f32_e32 v153, v134, v61
	v_mul_f32_e32 v154, v133, v61
	v_fma_f32 v119, -0.5, v129, v119
	v_fmac_f32_e32 v123, 0xbf167918, v130
	v_fmac_f32_e32 v125, 0x3f167918, v130
	v_fma_f32 v147, v133, v60, -v153
	v_fmac_f32_e32 v154, v134, v60
	v_sub_f32_e32 v132, v143, v141
	v_sub_f32_e32 v133, v128, v131
	v_add_f32_e32 v134, v120, v142
	v_mov_b32_e32 v127, v119
	v_fmac_f32_e32 v123, 0x3e9e377a, v124
	v_fmac_f32_e32 v125, 0x3e9e377a, v124
	v_add_f32_e32 v124, v144, v146
	v_add_f32_e32 v132, v132, v133
	;; [unrolled: 1-line block ×4, first 2 shown]
	v_fmac_f32_e32 v119, 0x3f737871, v130
	v_fmac_f32_e32 v127, 0xbf737871, v130
	v_fma_f32 v124, -0.5, v124, v120
	v_add_f32_e32 v134, v129, v146
	v_add_f32_e32 v129, v133, v131
	v_fmac_f32_e32 v119, 0xbf167918, v126
	v_fmac_f32_e32 v127, 0x3f167918, v126
	v_sub_f32_e32 v131, v141, v131
	v_mov_b32_e32 v126, v124
	v_fmac_f32_e32 v119, 0x3e9e377a, v132
	v_fmac_f32_e32 v127, 0x3e9e377a, v132
	v_fmac_f32_e32 v126, 0xbf737871, v131
	v_sub_f32_e32 v132, v143, v128
	v_sub_f32_e32 v128, v142, v144
	;; [unrolled: 1-line block ×3, first 2 shown]
	v_fmac_f32_e32 v124, 0x3f737871, v131
	v_fmac_f32_e32 v126, 0xbf167918, v132
	v_add_f32_e32 v128, v128, v133
	v_fmac_f32_e32 v124, 0x3f167918, v132
	v_fmac_f32_e32 v126, 0x3e9e377a, v128
	;; [unrolled: 1-line block ×3, first 2 shown]
	v_add_f32_e32 v128, v142, v148
	v_fma_f32 v120, -0.5, v128, v120
	v_mov_b32_e32 v128, v120
	v_add_f32_e32 v130, v134, v148
	v_fmac_f32_e32 v128, 0x3f737871, v132
	v_sub_f32_e32 v133, v144, v142
	v_sub_f32_e32 v134, v146, v148
	v_fmac_f32_e32 v120, 0xbf737871, v132
	v_mul_f32_e32 v156, v137, v63
	v_fmac_f32_e32 v128, 0xbf167918, v131
	v_add_f32_e32 v133, v133, v134
	v_fmac_f32_e32 v120, 0x3f167918, v131
	v_add_f32_e32 v132, v145, v147
	v_mul_f32_e32 v155, v138, v63
	v_fmac_f32_e32 v156, v138, v62
	v_fmac_f32_e32 v128, 0x3e9e377a, v133
	;; [unrolled: 1-line block ×3, first 2 shown]
	v_fma_f32 v133, -0.5, v132, v121
	v_fma_f32 v149, v137, v62, -v155
	v_sub_f32_e32 v132, v150, v156
	v_mov_b32_e32 v135, v133
	v_fmac_f32_e32 v135, 0x3f737871, v132
	v_sub_f32_e32 v134, v152, v154
	v_sub_f32_e32 v137, v136, v145
	v_sub_f32_e32 v138, v149, v147
	v_fmac_f32_e32 v133, 0xbf737871, v132
	v_fmac_f32_e32 v135, 0x3f167918, v134
	v_add_f32_e32 v137, v137, v138
	v_fmac_f32_e32 v133, 0xbf167918, v134
	v_fmac_f32_e32 v135, 0x3e9e377a, v137
	;; [unrolled: 1-line block ×3, first 2 shown]
	v_add_f32_e32 v137, v136, v149
	v_add_f32_e32 v131, v121, v136
	v_fma_f32 v121, -0.5, v137, v121
	v_mov_b32_e32 v137, v121
	v_fmac_f32_e32 v137, 0xbf737871, v134
	v_fmac_f32_e32 v121, 0x3f737871, v134
	v_add_f32_e32 v134, v152, v154
	v_sub_f32_e32 v138, v145, v136
	v_sub_f32_e32 v141, v147, v149
	v_fma_f32 v134, -0.5, v134, v122
	v_fmac_f32_e32 v137, 0x3f167918, v132
	v_add_f32_e32 v138, v138, v141
	v_fmac_f32_e32 v121, 0xbf167918, v132
	v_sub_f32_e32 v141, v136, v149
	v_mov_b32_e32 v136, v134
	v_fmac_f32_e32 v137, 0x3e9e377a, v138
	v_fmac_f32_e32 v121, 0x3e9e377a, v138
	;; [unrolled: 1-line block ×3, first 2 shown]
	v_sub_f32_e32 v142, v145, v147
	v_sub_f32_e32 v138, v150, v152
	;; [unrolled: 1-line block ×3, first 2 shown]
	v_fmac_f32_e32 v134, 0x3f737871, v141
	v_fmac_f32_e32 v136, 0xbf167918, v142
	v_add_f32_e32 v138, v138, v143
	v_fmac_f32_e32 v134, 0x3f167918, v142
	v_fmac_f32_e32 v136, 0x3e9e377a, v138
	;; [unrolled: 1-line block ×3, first 2 shown]
	v_add_f32_e32 v138, v150, v156
	v_add_f32_e32 v132, v122, v150
	v_fmac_f32_e32 v122, -0.5, v138
	v_mov_b32_e32 v138, v122
	v_add_f32_e32 v131, v131, v145
	v_add_f32_e32 v132, v132, v152
	v_fmac_f32_e32 v138, 0x3f737871, v142
	v_sub_f32_e32 v143, v152, v150
	v_sub_f32_e32 v144, v154, v156
	v_fmac_f32_e32 v122, 0xbf737871, v142
	v_add_f32_e32 v131, v131, v147
	v_add_f32_e32 v132, v132, v154
	v_fmac_f32_e32 v138, 0xbf167918, v141
	v_add_f32_e32 v143, v143, v144
	v_fmac_f32_e32 v122, 0x3f167918, v141
	v_add_f32_e32 v131, v131, v149
	v_add_f32_e32 v132, v132, v156
	v_fmac_f32_e32 v138, 0x3e9e377a, v143
	v_fmac_f32_e32 v122, 0x3e9e377a, v143
	ds_write_b64 v106, v[125:126] offset:2800
	ds_write_b64 v106, v[127:128] offset:5600
	;; [unrolled: 1-line block ×4, first 2 shown]
	ds_write2_b64 v106, v[129:130], v[131:132] offset1:175
	ds_write_b64 v106, v[135:136] offset:4200
	ds_write_b64 v106, v[137:138] offset:7000
	;; [unrolled: 1-line block ×4, first 2 shown]
	v_add_co_u32_e64 v119, s[0:1], s0, v139
	v_addc_co_u32_e64 v120, s[0:1], 0, v140, s[0:1]
	s_waitcnt lgkmcnt(0)
	s_barrier
	global_load_dwordx2 v[123:124], v[119:120], off offset:1712
	s_movk_i32 s0, 0x5000
	v_add_co_u32_e64 v119, s[0:1], s0, v139
	v_addc_co_u32_e64 v120, s[0:1], 0, v140, s[0:1]
	global_load_dwordx2 v[127:128], v[119:120], off offset:520
	v_add_co_u32_e64 v121, s[0:1], s4, v139
	v_addc_co_u32_e64 v122, s[0:1], 0, v140, s[0:1]
	global_load_dwordx2 v[129:130], v[121:122], off offset:1400
	global_load_dwordx2 v[131:132], v[119:120], off offset:1920
	;; [unrolled: 1-line block ×4, first 2 shown]
	s_movk_i32 s0, 0x4000
	v_add_co_u32_e64 v119, s[0:1], s0, v139
	v_addc_co_u32_e64 v120, s[0:1], 0, v140, s[0:1]
	global_load_dwordx2 v[137:138], v[119:120], off offset:1816
	s_movk_i32 s0, 0x6000
	v_add_co_u32_e64 v121, s[0:1], s0, v139
	v_addc_co_u32_e64 v122, s[0:1], 0, v140, s[0:1]
	global_load_dwordx2 v[139:140], v[121:122], off offset:624
	global_load_dwordx2 v[141:142], v[119:120], off offset:3216
	;; [unrolled: 1-line block ×3, first 2 shown]
	ds_read2_b64 v[119:122], v106 offset1:175
	s_waitcnt vmcnt(9) lgkmcnt(0)
	v_mul_f32_e32 v125, v120, v124
	v_mul_f32_e32 v126, v119, v124
	v_fma_f32 v125, v119, v123, -v125
	v_fmac_f32_e32 v126, v120, v123
	ds_write_b64 v106, v[125:126]
	ds_read2_b64 v[123:126], v104 offset0:60 offset1:235
	s_waitcnt vmcnt(7)
	v_mul_f32_e32 v148, v121, v130
	v_fmac_f32_e32 v148, v122, v129
	s_waitcnt lgkmcnt(0)
	v_mul_f32_e32 v119, v126, v128
	v_mul_f32_e32 v146, v125, v128
	v_fma_f32 v145, v125, v127, -v119
	v_fmac_f32_e32 v146, v126, v127
	ds_read2_b64 v[125:128], v73 offset0:26 offset1:201
	v_mul_f32_e32 v119, v122, v130
	v_fma_f32 v147, v121, v129, -v119
	s_waitcnt vmcnt(6) lgkmcnt(0)
	v_mul_f32_e32 v119, v126, v132
	v_fma_f32 v129, v125, v131, -v119
	ds_read2_b64 v[119:122], v115 offset0:30 offset1:205
	v_mul_f32_e32 v130, v125, v132
	v_fmac_f32_e32 v130, v126, v131
	v_add_u32_e32 v125, 0x1a00, v106
	ds_write2_b64 v125, v[145:146], v[129:130] offset0:43 offset1:218
	s_waitcnt vmcnt(5) lgkmcnt(1)
	v_mul_f32_e32 v125, v120, v134
	v_mul_f32_e32 v126, v119, v134
	v_fma_f32 v125, v119, v133, -v125
	v_fmac_f32_e32 v126, v120, v133
	v_add_u32_e32 v119, 0x400, v106
	ds_write2_b64 v119, v[147:148], v[125:126] offset0:47 offset1:222
	s_waitcnt vmcnt(4)
	v_mul_f32_e32 v119, v128, v136
	v_mul_f32_e32 v120, v127, v136
	v_fma_f32 v119, v127, v135, -v119
	v_fmac_f32_e32 v120, v128, v135
	ds_read2_b64 v[125:128], v72 offset0:56 offset1:231
	s_waitcnt vmcnt(3)
	v_mul_f32_e32 v129, v122, v138
	v_mul_f32_e32 v130, v121, v138
	v_fma_f32 v129, v121, v137, -v129
	v_fmac_f32_e32 v130, v122, v137
	s_waitcnt vmcnt(2) lgkmcnt(0)
	v_mul_f32_e32 v121, v126, v140
	v_mul_f32_e32 v122, v125, v140
	v_fma_f32 v121, v125, v139, -v121
	v_fmac_f32_e32 v122, v126, v139
	v_add_u32_e32 v125, 0x2400, v106
	ds_write2_b64 v125, v[119:120], v[121:122] offset0:73 offset1:248
	s_waitcnt vmcnt(1)
	v_mul_f32_e32 v119, v124, v142
	v_mul_f32_e32 v120, v123, v142
	v_fma_f32 v119, v123, v141, -v119
	v_fmac_f32_e32 v120, v124, v141
	v_add_u32_e32 v121, 0x1000, v106
	ds_write2_b64 v121, v[129:130], v[119:120] offset0:13 offset1:188
	s_waitcnt vmcnt(0)
	v_mul_f32_e32 v119, v128, v144
	v_mul_f32_e32 v120, v127, v144
	v_fma_f32 v119, v127, v143, -v119
	v_fmac_f32_e32 v120, v128, v143
	ds_write_b64 v106, v[119:120] offset:12600
	s_waitcnt lgkmcnt(0)
	s_barrier
	ds_read2_b64 v[119:122], v106 offset1:175
	ds_read2_b64 v[123:126], v104 offset0:60 offset1:235
	ds_read2_b64 v[127:130], v73 offset0:26 offset1:201
	;; [unrolled: 1-line block ×4, first 2 shown]
	s_waitcnt lgkmcnt(0)
	v_sub_f32_e32 v141, v119, v125
	v_sub_f32_e32 v127, v121, v127
	;; [unrolled: 1-line block ×4, first 2 shown]
	v_fma_f32 v125, v121, 2.0, -v127
	v_fma_f32 v126, v122, 2.0, -v128
	v_sub_f32_e32 v121, v131, v129
	v_sub_f32_e32 v122, v132, v130
	v_fma_f32 v139, v119, 2.0, -v141
	v_fma_f32 v140, v120, 2.0, -v142
	;; [unrolled: 1-line block ×4, first 2 shown]
	v_sub_f32_e32 v131, v133, v135
	v_sub_f32_e32 v132, v134, v136
	;; [unrolled: 1-line block ×4, first 2 shown]
	v_fma_f32 v129, v133, 2.0, -v131
	v_fma_f32 v130, v134, 2.0, -v132
	;; [unrolled: 1-line block ×4, first 2 shown]
	s_barrier
	ds_write_b128 v107, v[139:142]
	ds_write_b128 v108, v[125:128]
	;; [unrolled: 1-line block ×5, first 2 shown]
	s_waitcnt lgkmcnt(0)
	s_barrier
	ds_read2_b64 v[116:119], v115 offset0:30 offset1:205
	ds_read2_b64 v[120:123], v106 offset1:175
	ds_read2_b64 v[124:127], v104 offset0:60 offset1:235
	ds_read2_b64 v[128:131], v73 offset0:26 offset1:201
	;; [unrolled: 1-line block ×3, first 2 shown]
	s_waitcnt lgkmcnt(4)
	v_mul_f32_e32 v107, v9, v117
	v_mul_f32_e32 v9, v9, v116
	v_fmac_f32_e32 v107, v8, v116
	v_fma_f32 v108, v8, v117, -v9
	s_waitcnt lgkmcnt(2)
	v_mul_f32_e32 v9, v11, v125
	v_mul_f32_e32 v8, v11, v124
	s_waitcnt lgkmcnt(1)
	v_mul_f32_e32 v11, v1, v129
	v_mul_f32_e32 v1, v1, v128
	v_fmac_f32_e32 v11, v0, v128
	v_fma_f32 v116, v0, v129, -v1
	s_waitcnt lgkmcnt(0)
	v_mul_f32_e32 v0, v3, v132
	v_fmac_f32_e32 v9, v10, v124
	v_fma_f32 v10, v10, v125, -v8
	v_fma_f32 v124, v2, v133, -v0
	v_mul_f32_e32 v125, v13, v119
	v_mul_f32_e32 v0, v13, v118
	;; [unrolled: 1-line block ×3, first 2 shown]
	v_fmac_f32_e32 v125, v12, v118
	v_fma_f32 v118, v12, v119, -v0
	v_mul_f32_e32 v119, v15, v127
	v_mul_f32_e32 v0, v15, v126
	v_add_f32_e32 v1, v9, v11
	v_fmac_f32_e32 v117, v2, v132
	v_fmac_f32_e32 v119, v14, v126
	v_fma_f32 v126, v14, v127, -v0
	v_mul_f32_e32 v127, v5, v131
	v_mul_f32_e32 v0, v5, v130
	v_fma_f32 v2, -0.5, v1, v120
	v_fmac_f32_e32 v127, v4, v130
	v_fma_f32 v128, v4, v131, -v0
	v_mul_f32_e32 v15, v7, v135
	v_mul_f32_e32 v0, v7, v134
	v_sub_f32_e32 v1, v108, v124
	v_mov_b32_e32 v4, v2
	v_fmac_f32_e32 v15, v6, v134
	v_fma_f32 v129, v6, v135, -v0
	v_fmac_f32_e32 v4, 0xbf737871, v1
	v_sub_f32_e32 v3, v10, v116
	v_sub_f32_e32 v5, v107, v9
	;; [unrolled: 1-line block ×3, first 2 shown]
	v_fmac_f32_e32 v2, 0x3f737871, v1
	v_fmac_f32_e32 v4, 0xbf167918, v3
	v_add_f32_e32 v5, v5, v6
	v_fmac_f32_e32 v2, 0x3f167918, v3
	v_fmac_f32_e32 v4, 0x3e9e377a, v5
	;; [unrolled: 1-line block ×3, first 2 shown]
	v_add_f32_e32 v5, v107, v117
	v_fma_f32 v6, -0.5, v5, v120
	v_mov_b32_e32 v8, v6
	v_fmac_f32_e32 v8, 0x3f737871, v3
	v_sub_f32_e32 v5, v9, v107
	v_sub_f32_e32 v7, v11, v117
	v_fmac_f32_e32 v6, 0xbf737871, v3
	v_add_f32_e32 v3, v10, v116
	v_add_f32_e32 v0, v120, v107
	v_fmac_f32_e32 v8, 0xbf167918, v1
	v_add_f32_e32 v5, v5, v7
	v_fmac_f32_e32 v6, 0x3f167918, v1
	v_fma_f32 v3, -0.5, v3, v121
	v_add_f32_e32 v0, v0, v9
	v_fmac_f32_e32 v8, 0x3e9e377a, v5
	v_fmac_f32_e32 v6, 0x3e9e377a, v5
	v_sub_f32_e32 v12, v107, v117
	v_mov_b32_e32 v5, v3
	v_add_f32_e32 v0, v0, v11
	v_fmac_f32_e32 v5, 0x3f737871, v12
	v_sub_f32_e32 v11, v9, v11
	v_sub_f32_e32 v7, v108, v10
	;; [unrolled: 1-line block ×3, first 2 shown]
	v_fmac_f32_e32 v3, 0xbf737871, v12
	v_fmac_f32_e32 v5, 0x3f167918, v11
	v_add_f32_e32 v7, v7, v9
	v_fmac_f32_e32 v3, 0xbf167918, v11
	v_fmac_f32_e32 v5, 0x3e9e377a, v7
	;; [unrolled: 1-line block ×3, first 2 shown]
	v_add_f32_e32 v7, v108, v124
	v_fma_f32 v7, -0.5, v7, v121
	v_mov_b32_e32 v9, v7
	v_fmac_f32_e32 v9, 0xbf737871, v11
	v_fmac_f32_e32 v7, 0x3f737871, v11
	v_add_f32_e32 v11, v119, v127
	v_add_f32_e32 v1, v121, v108
	v_fmac_f32_e32 v9, 0x3f167918, v12
	v_fmac_f32_e32 v7, 0xbf167918, v12
	v_fma_f32 v12, -0.5, v11, v122
	v_add_f32_e32 v1, v1, v10
	v_sub_f32_e32 v10, v10, v108
	v_sub_f32_e32 v13, v116, v124
	;; [unrolled: 1-line block ×3, first 2 shown]
	v_mov_b32_e32 v14, v12
	v_add_f32_e32 v10, v10, v13
	v_fmac_f32_e32 v14, 0xbf737871, v11
	v_sub_f32_e32 v13, v126, v128
	v_sub_f32_e32 v107, v125, v119
	;; [unrolled: 1-line block ×3, first 2 shown]
	v_fmac_f32_e32 v12, 0x3f737871, v11
	v_fmac_f32_e32 v14, 0xbf167918, v13
	v_add_f32_e32 v107, v107, v108
	v_fmac_f32_e32 v12, 0x3f167918, v13
	v_fmac_f32_e32 v14, 0x3e9e377a, v107
	;; [unrolled: 1-line block ×3, first 2 shown]
	v_add_f32_e32 v107, v125, v15
	v_fmac_f32_e32 v9, 0x3e9e377a, v10
	v_fmac_f32_e32 v7, 0x3e9e377a, v10
	v_add_f32_e32 v10, v122, v125
	v_fma_f32 v122, -0.5, v107, v122
	v_mov_b32_e32 v107, v122
	v_add_f32_e32 v10, v10, v119
	v_fmac_f32_e32 v107, 0x3f737871, v13
	v_fmac_f32_e32 v122, 0xbf737871, v13
	v_add_f32_e32 v13, v126, v128
	v_add_f32_e32 v1, v1, v116
	;; [unrolled: 1-line block ×3, first 2 shown]
	v_sub_f32_e32 v108, v119, v125
	v_sub_f32_e32 v116, v127, v15
	v_fma_f32 v13, -0.5, v13, v123
	v_add_f32_e32 v10, v10, v15
	v_fmac_f32_e32 v107, 0xbf167918, v11
	v_add_f32_e32 v108, v108, v116
	v_fmac_f32_e32 v122, 0x3f167918, v11
	v_sub_f32_e32 v116, v125, v15
	v_mov_b32_e32 v15, v13
	v_add_f32_e32 v0, v0, v117
	v_fmac_f32_e32 v107, 0x3e9e377a, v108
	v_fmac_f32_e32 v122, 0x3e9e377a, v108
	;; [unrolled: 1-line block ×3, first 2 shown]
	v_sub_f32_e32 v117, v119, v127
	v_sub_f32_e32 v108, v118, v126
	;; [unrolled: 1-line block ×3, first 2 shown]
	v_fmac_f32_e32 v13, 0xbf737871, v116
	v_fmac_f32_e32 v15, 0x3f167918, v117
	v_add_f32_e32 v108, v108, v119
	v_fmac_f32_e32 v13, 0xbf167918, v117
	v_fmac_f32_e32 v15, 0x3e9e377a, v108
	;; [unrolled: 1-line block ×3, first 2 shown]
	v_add_f32_e32 v108, v118, v129
	v_add_f32_e32 v11, v123, v118
	v_fmac_f32_e32 v123, -0.5, v108
	v_add_f32_e32 v11, v11, v126
	v_mov_b32_e32 v108, v123
	v_add_f32_e32 v11, v11, v128
	v_fmac_f32_e32 v108, 0xbf737871, v117
	v_sub_f32_e32 v118, v126, v118
	v_sub_f32_e32 v119, v128, v129
	v_fmac_f32_e32 v123, 0x3f737871, v117
	v_add_f32_e32 v1, v1, v124
	v_add_f32_e32 v11, v11, v129
	v_fmac_f32_e32 v108, 0x3f167918, v116
	v_add_f32_e32 v118, v118, v119
	v_fmac_f32_e32 v123, 0xbf167918, v116
	v_fmac_f32_e32 v108, 0x3e9e377a, v118
	;; [unrolled: 1-line block ×3, first 2 shown]
	s_barrier
	ds_write2_b64 v111, v[0:1], v[4:5] offset1:2
	ds_write2_b64 v111, v[8:9], v[6:7] offset0:4 offset1:6
	ds_write_b64 v111, v[2:3] offset:64
	ds_write2_b64 v112, v[10:11], v[14:15] offset1:2
	ds_write2_b64 v112, v[107:108], v[122:123] offset0:4 offset1:6
	ds_write_b64 v112, v[12:13] offset:64
	s_waitcnt lgkmcnt(0)
	s_barrier
	ds_read2_b64 v[4:7], v115 offset0:30 offset1:205
	ds_read2_b64 v[0:3], v106 offset1:175
	ds_read2_b64 v[8:11], v104 offset0:60 offset1:235
	ds_read2_b64 v[12:15], v73 offset0:26 offset1:201
	ds_read2_b64 v[115:118], v72 offset0:56 offset1:231
	s_waitcnt lgkmcnt(4)
	v_mul_f32_e32 v72, v17, v5
	v_fmac_f32_e32 v72, v16, v4
	v_mul_f32_e32 v4, v17, v4
	v_fma_f32 v16, v16, v5, -v4
	s_waitcnt lgkmcnt(2)
	v_mul_f32_e32 v17, v19, v9
	v_mul_f32_e32 v4, v19, v8
	v_fmac_f32_e32 v17, v18, v8
	v_fma_f32 v18, v18, v9, -v4
	s_waitcnt lgkmcnt(1)
	v_mul_f32_e32 v19, v25, v13
	v_mul_f32_e32 v4, v25, v12
	v_fmac_f32_e32 v19, v24, v12
	;; [unrolled: 5-line block ×3, first 2 shown]
	v_fma_f32 v25, v26, v116, -v4
	v_mul_f32_e32 v26, v21, v7
	v_add_f32_e32 v5, v17, v19
	v_fmac_f32_e32 v26, v20, v6
	v_mul_f32_e32 v4, v21, v6
	v_fma_f32 v6, -0.5, v5, v0
	v_fma_f32 v20, v20, v7, -v4
	v_mul_f32_e32 v21, v23, v11
	v_mul_f32_e32 v4, v23, v10
	v_sub_f32_e32 v5, v16, v25
	v_mov_b32_e32 v8, v6
	v_fmac_f32_e32 v21, v22, v10
	v_fma_f32 v22, v22, v11, -v4
	v_fmac_f32_e32 v8, 0xbf737871, v5
	v_sub_f32_e32 v7, v18, v24
	v_sub_f32_e32 v10, v72, v17
	;; [unrolled: 1-line block ×3, first 2 shown]
	v_fmac_f32_e32 v6, 0x3f737871, v5
	v_fmac_f32_e32 v8, 0xbf167918, v7
	v_add_f32_e32 v10, v10, v11
	v_fmac_f32_e32 v6, 0x3f167918, v7
	v_fmac_f32_e32 v8, 0x3e9e377a, v10
	;; [unrolled: 1-line block ×3, first 2 shown]
	v_add_f32_e32 v10, v72, v9
	v_mul_f32_e32 v4, v29, v14
	v_fma_f32 v10, -0.5, v10, v0
	v_fma_f32 v27, v28, v15, -v4
	v_mul_f32_e32 v4, v31, v117
	v_mov_b32_e32 v12, v10
	v_mul_f32_e32 v23, v29, v15
	v_fma_f32 v29, v30, v118, -v4
	v_add_f32_e32 v4, v0, v72
	v_fmac_f32_e32 v12, 0x3f737871, v7
	v_sub_f32_e32 v0, v17, v72
	v_sub_f32_e32 v11, v19, v9
	v_fmac_f32_e32 v10, 0xbf737871, v7
	v_fmac_f32_e32 v12, 0xbf167918, v5
	v_add_f32_e32 v0, v0, v11
	v_fmac_f32_e32 v10, 0x3f167918, v5
	v_fmac_f32_e32 v12, 0x3e9e377a, v0
	;; [unrolled: 1-line block ×3, first 2 shown]
	v_add_f32_e32 v0, v1, v16
	v_add_f32_e32 v0, v0, v18
	;; [unrolled: 1-line block ×7, first 2 shown]
	v_fma_f32 v7, -0.5, v0, v1
	v_add_f32_e32 v4, v4, v9
	v_sub_f32_e32 v0, v72, v9
	v_mov_b32_e32 v9, v7
	v_fmac_f32_e32 v23, v28, v14
	v_fmac_f32_e32 v9, 0x3f737871, v0
	v_sub_f32_e32 v14, v17, v19
	v_sub_f32_e32 v11, v16, v18
	;; [unrolled: 1-line block ×3, first 2 shown]
	v_fmac_f32_e32 v7, 0xbf737871, v0
	v_fmac_f32_e32 v9, 0x3f167918, v14
	v_add_f32_e32 v11, v11, v13
	v_fmac_f32_e32 v7, 0xbf167918, v14
	v_fmac_f32_e32 v9, 0x3e9e377a, v11
	;; [unrolled: 1-line block ×3, first 2 shown]
	v_add_f32_e32 v11, v16, v25
	v_fma_f32 v11, -0.5, v11, v1
	v_mov_b32_e32 v13, v11
	v_fmac_f32_e32 v13, 0xbf737871, v14
	v_fmac_f32_e32 v11, 0x3f737871, v14
	;; [unrolled: 1-line block ×4, first 2 shown]
	v_add_f32_e32 v0, v2, v26
	v_mul_f32_e32 v28, v31, v118
	v_add_f32_e32 v0, v0, v21
	v_fmac_f32_e32 v28, v30, v117
	v_add_f32_e32 v0, v0, v23
	v_sub_f32_e32 v1, v18, v16
	v_sub_f32_e32 v15, v24, v25
	v_add_f32_e32 v14, v0, v28
	v_add_f32_e32 v0, v21, v23
	;; [unrolled: 1-line block ×3, first 2 shown]
	v_fma_f32 v72, -0.5, v0, v2
	v_fmac_f32_e32 v13, 0x3e9e377a, v1
	v_fmac_f32_e32 v11, 0x3e9e377a, v1
	v_sub_f32_e32 v1, v20, v29
	v_mov_b32_e32 v16, v72
	v_fmac_f32_e32 v16, 0xbf737871, v1
	v_sub_f32_e32 v15, v22, v27
	v_sub_f32_e32 v0, v26, v21
	;; [unrolled: 1-line block ×3, first 2 shown]
	v_fmac_f32_e32 v72, 0x3f737871, v1
	v_fmac_f32_e32 v16, 0xbf167918, v15
	v_add_f32_e32 v0, v0, v17
	v_fmac_f32_e32 v72, 0x3f167918, v15
	v_fmac_f32_e32 v16, 0x3e9e377a, v0
	;; [unrolled: 1-line block ×3, first 2 shown]
	v_add_f32_e32 v0, v26, v28
	v_fma_f32 v2, -0.5, v0, v2
	v_mov_b32_e32 v0, v2
	v_fmac_f32_e32 v0, 0x3f737871, v15
	v_fmac_f32_e32 v2, 0xbf737871, v15
	;; [unrolled: 1-line block ×4, first 2 shown]
	v_add_f32_e32 v1, v3, v20
	v_add_f32_e32 v1, v1, v22
	;; [unrolled: 1-line block ×3, first 2 shown]
	v_sub_f32_e32 v17, v21, v26
	v_sub_f32_e32 v18, v23, v28
	v_add_f32_e32 v15, v1, v29
	v_add_f32_e32 v1, v22, v27
	;; [unrolled: 1-line block ×3, first 2 shown]
	v_fma_f32 v73, -0.5, v1, v3
	v_fmac_f32_e32 v0, 0x3e9e377a, v17
	v_fmac_f32_e32 v2, 0x3e9e377a, v17
	v_sub_f32_e32 v18, v26, v28
	v_mov_b32_e32 v17, v73
	v_fmac_f32_e32 v17, 0x3f737871, v18
	v_sub_f32_e32 v19, v21, v23
	v_sub_f32_e32 v1, v20, v22
	;; [unrolled: 1-line block ×3, first 2 shown]
	v_fmac_f32_e32 v73, 0xbf737871, v18
	v_fmac_f32_e32 v17, 0x3f167918, v19
	v_add_f32_e32 v1, v1, v21
	v_fmac_f32_e32 v73, 0xbf167918, v19
	v_fmac_f32_e32 v17, 0x3e9e377a, v1
	;; [unrolled: 1-line block ×3, first 2 shown]
	v_add_f32_e32 v1, v20, v29
	v_fmac_f32_e32 v3, -0.5, v1
	v_mov_b32_e32 v1, v3
	v_fmac_f32_e32 v1, 0xbf737871, v19
	v_sub_f32_e32 v20, v22, v20
	v_sub_f32_e32 v21, v27, v29
	v_fmac_f32_e32 v3, 0x3f737871, v19
	v_fmac_f32_e32 v1, 0x3f167918, v18
	v_add_f32_e32 v20, v20, v21
	v_fmac_f32_e32 v3, 0xbf167918, v18
	v_fmac_f32_e32 v1, 0x3e9e377a, v20
	;; [unrolled: 1-line block ×3, first 2 shown]
	s_barrier
	ds_write2_b64 v113, v[4:5], v[8:9] offset1:10
	ds_write2_b64 v113, v[12:13], v[10:11] offset0:20 offset1:30
	ds_write_b64 v113, v[6:7] offset:320
	ds_write2_b64 v114, v[14:15], v[16:17] offset1:10
	ds_write2_b64 v114, v[0:1], v[2:3] offset0:20 offset1:30
	ds_write_b64 v114, v[72:73] offset:320
	v_add_u32_e32 v8, 0xf80, v106
	s_waitcnt lgkmcnt(0)
	s_barrier
	ds_read2_b64 v[12:15], v8 offset0:4 offset1:254
	v_add_u32_e32 v8, 0x1f40, v106
	ds_read2_b64 v[4:7], v106 offset1:250
	ds_read2_b64 v[8:11], v8 offset1:250
	ds_read_b64 v[16:17], v106 offset:12000
	s_and_saveexec_b64 s[0:1], vcc
	s_cbranch_execz .LBB0_7
; %bb.6:
	v_add_u32_e32 v18, 0x1500, v106
	v_add_u32_e32 v0, 0x560, v106
	ds_read2_b64 v[72:75], v18 offset0:3 offset1:253
	v_add_u32_e32 v18, 0x24a0, v106
	ds_read2_b64 v[0:3], v0 offset0:3 offset1:253
	ds_read2_b64 v[76:79], v18 offset0:3 offset1:253
	ds_read_b64 v[101:102], v106 offset:13400
.LBB0_7:
	s_or_b64 exec, exec, s[0:1]
	s_waitcnt lgkmcnt(2)
	v_mul_f32_e32 v18, v53, v7
	v_fmac_f32_e32 v18, v52, v6
	v_mul_f32_e32 v6, v53, v6
	v_fma_f32 v6, v52, v7, -v6
	v_mul_f32_e32 v7, v55, v13
	v_fmac_f32_e32 v7, v54, v12
	v_mul_f32_e32 v12, v55, v12
	v_fma_f32 v12, v54, v13, -v12
	;; [unrolled: 4-line block ×3, first 2 shown]
	s_waitcnt lgkmcnt(1)
	v_mul_f32_e32 v15, v51, v9
	v_fmac_f32_e32 v15, v50, v8
	v_mul_f32_e32 v8, v51, v8
	v_fma_f32 v8, v50, v9, -v8
	v_mul_f32_e32 v9, v45, v11
	v_fmac_f32_e32 v9, v44, v10
	v_mul_f32_e32 v10, v45, v10
	v_fma_f32 v10, v44, v11, -v10
	s_waitcnt lgkmcnt(0)
	v_mul_f32_e32 v11, v47, v17
	v_fmac_f32_e32 v11, v46, v16
	v_mul_f32_e32 v16, v47, v16
	v_fma_f32 v16, v46, v17, -v16
	v_add_f32_e32 v17, v18, v11
	v_add_f32_e32 v19, v6, v16
	v_sub_f32_e32 v6, v6, v16
	v_add_f32_e32 v16, v7, v9
	v_sub_f32_e32 v11, v18, v11
	;; [unrolled: 2-line block ×3, first 2 shown]
	v_sub_f32_e32 v9, v12, v10
	v_add_f32_e32 v10, v13, v15
	v_add_f32_e32 v12, v14, v8
	v_sub_f32_e32 v8, v8, v14
	v_add_f32_e32 v14, v16, v17
	v_sub_f32_e32 v13, v15, v13
	;; [unrolled: 2-line block ×3, first 2 shown]
	v_sub_f32_e32 v17, v17, v10
	v_sub_f32_e32 v16, v10, v16
	v_add_f32_e32 v10, v10, v14
	v_sub_f32_e32 v21, v18, v19
	v_sub_f32_e32 v19, v19, v12
	;; [unrolled: 1-line block ×3, first 2 shown]
	v_add_f32_e32 v12, v12, v15
	v_add_f32_e32 v4, v4, v10
	;; [unrolled: 1-line block ×4, first 2 shown]
	v_sub_f32_e32 v24, v13, v7
	v_sub_f32_e32 v25, v8, v9
	v_add_f32_e32 v5, v5, v12
	v_mov_b32_e32 v26, v4
	v_sub_f32_e32 v13, v11, v13
	v_sub_f32_e32 v8, v6, v8
	;; [unrolled: 1-line block ×4, first 2 shown]
	v_add_f32_e32 v11, v22, v11
	v_add_f32_e32 v6, v23, v6
	v_mul_f32_e32 v14, 0x3f4a47b2, v17
	v_mul_f32_e32 v15, 0x3f4a47b2, v19
	;; [unrolled: 1-line block ×6, first 2 shown]
	s_mov_b32 s4, 0xbf5ff5aa
	v_fmac_f32_e32 v26, 0xbf955555, v10
	v_mov_b32_e32 v10, v5
	s_mov_b32 s5, 0x3f3bfb3b
	s_mov_b32 s6, 0xbf3bfb3b
	v_mul_f32_e32 v24, 0xbf5ff5aa, v7
	v_mul_f32_e32 v25, 0xbf5ff5aa, v9
	v_fmac_f32_e32 v10, 0xbf955555, v12
	v_fma_f32 v12, v20, s5, -v17
	v_fma_f32 v17, v21, s5, -v19
	;; [unrolled: 1-line block ×3, first 2 shown]
	v_fmac_f32_e32 v14, 0x3d64c772, v16
	v_fma_f32 v16, v21, s6, -v15
	v_fmac_f32_e32 v15, 0x3d64c772, v18
	v_fma_f32 v18, v7, s4, -v22
	;; [unrolled: 2-line block ×3, first 2 shown]
	v_fmac_f32_e32 v23, 0xbeae86e6, v8
	s_mov_b32 s7, 0x3eae86e6
	v_fma_f32 v21, v13, s7, -v24
	v_fma_f32 v24, v8, s7, -v25
	v_add_f32_e32 v25, v14, v26
	v_add_f32_e32 v27, v15, v10
	v_fmac_f32_e32 v22, 0xbee1c552, v11
	v_fmac_f32_e32 v23, 0xbee1c552, v6
	v_add_f32_e32 v12, v12, v26
	v_add_f32_e32 v13, v17, v10
	;; [unrolled: 1-line block ×4, first 2 shown]
	v_fmac_f32_e32 v18, 0xbee1c552, v11
	v_fmac_f32_e32 v20, 0xbee1c552, v6
	;; [unrolled: 1-line block ×4, first 2 shown]
	v_add_f32_e32 v6, v23, v25
	v_sub_f32_e32 v7, v27, v22
	v_add_f32_e32 v8, v24, v14
	v_sub_f32_e32 v9, v15, v21
	v_sub_f32_e32 v10, v12, v20
	v_add_f32_e32 v11, v18, v13
	v_add_f32_e32 v12, v20, v12
	v_sub_f32_e32 v13, v13, v18
	v_sub_f32_e32 v14, v14, v24
	v_add_f32_e32 v15, v21, v15
	v_sub_f32_e32 v16, v25, v23
	v_add_f32_e32 v17, v22, v27
	s_barrier
	ds_write2_b64 v103, v[4:5], v[6:7] offset1:50
	ds_write2_b64 v103, v[8:9], v[10:11] offset0:100 offset1:150
	ds_write2_b64 v103, v[12:13], v[14:15] offset0:200 offset1:250
	ds_write_b64 v103, v[16:17] offset:2400
	s_and_saveexec_b64 s[0:1], vcc
	s_cbranch_execz .LBB0_9
; %bb.8:
	v_mul_f32_e32 v4, v41, v3
	v_fmac_f32_e32 v4, v40, v2
	v_mul_f32_e32 v5, v35, v102
	v_mul_f32_e32 v7, v39, v77
	v_mul_f32_e32 v8, v37, v75
	v_mul_f32_e32 v2, v41, v2
	v_fmac_f32_e32 v5, v34, v101
	v_fmac_f32_e32 v7, v38, v76
	;; [unrolled: 1-line block ×3, first 2 shown]
	v_fma_f32 v2, v40, v3, -v2
	v_mul_f32_e32 v3, v37, v74
	v_sub_f32_e32 v6, v4, v5
	v_mul_f32_e32 v11, v43, v73
	v_mul_f32_e32 v12, v33, v79
	;; [unrolled: 1-line block ×3, first 2 shown]
	v_fma_f32 v18, v36, v75, -v3
	v_mul_f32_e32 v3, v39, v76
	v_add_f32_e32 v4, v5, v4
	v_add_f32_e32 v5, v8, v7
	v_sub_f32_e32 v9, v7, v8
	v_fmac_f32_e32 v11, v42, v72
	v_fmac_f32_e32 v12, v32, v78
	v_fma_f32 v16, v34, v102, -v16
	v_fma_f32 v19, v38, v77, -v3
	v_sub_f32_e32 v7, v4, v5
	v_add_f32_e32 v17, v16, v2
	v_add_f32_e32 v3, v18, v19
	v_mul_f32_e32 v21, v33, v78
	v_mul_f32_e32 v22, v43, v72
	;; [unrolled: 1-line block ×3, first 2 shown]
	v_add_f32_e32 v8, v12, v11
	v_sub_f32_e32 v13, v11, v12
	v_sub_f32_e32 v20, v17, v3
	v_fma_f32 v21, v32, v79, -v21
	v_fma_f32 v22, v42, v73, -v22
	v_sub_f32_e32 v11, v5, v8
	v_mov_b32_e32 v27, v7
	v_mul_f32_e32 v20, 0x3f4a47b2, v20
	v_add_f32_e32 v23, v21, v22
	v_mul_f32_e32 v12, 0x3d64c772, v11
	v_fmac_f32_e32 v27, 0x3d64c772, v11
	v_add_f32_e32 v11, v8, v4
	v_sub_f32_e32 v24, v3, v23
	v_mov_b32_e32 v26, v20
	v_add_f32_e32 v5, v5, v11
	v_mul_f32_e32 v25, 0x3d64c772, v24
	v_fmac_f32_e32 v26, 0x3d64c772, v24
	v_add_f32_e32 v24, v23, v17
	v_add_f32_e32 v0, v0, v5
	;; [unrolled: 1-line block ×3, first 2 shown]
	v_mov_b32_e32 v11, v0
	v_sub_f32_e32 v16, v2, v16
	v_sub_f32_e32 v2, v19, v18
	;; [unrolled: 1-line block ×5, first 2 shown]
	v_add_f32_e32 v9, v9, v13
	v_add_f32_e32 v1, v1, v3
	v_fmac_f32_e32 v11, 0xbf955555, v5
	v_sub_f32_e32 v5, v2, v19
	v_mul_f32_e32 v14, 0x3f08b237, v14
	v_add_f32_e32 v9, v9, v6
	v_mov_b32_e32 v24, v1
	v_sub_f32_e32 v18, v16, v2
	v_mul_f32_e32 v21, 0x3f08b237, v5
	v_add_f32_e32 v2, v2, v19
	v_sub_f32_e32 v6, v13, v6
	v_sub_f32_e32 v13, v23, v17
	;; [unrolled: 1-line block ×3, first 2 shown]
	v_mov_b32_e32 v15, v14
	v_fmac_f32_e32 v24, 0xbf955555, v3
	v_mov_b32_e32 v22, v21
	v_add_f32_e32 v28, v2, v16
	v_mul_f32_e32 v5, 0xbf5ff5aa, v6
	v_fma_f32 v4, v8, s6, -v7
	v_sub_f32_e32 v16, v19, v16
	v_fma_f32 v7, v13, s5, -v25
	v_fma_f32 v14, v6, s4, -v14
	v_fmac_f32_e32 v15, 0xbeae86e6, v10
	v_fmac_f32_e32 v22, 0xbeae86e6, v18
	v_fma_f32 v10, v10, s7, -v5
	v_fma_f32 v5, v13, s6, -v20
	v_add_f32_e32 v20, v4, v11
	v_mul_f32_e32 v4, 0xbf5ff5aa, v16
	v_add_f32_e32 v13, v7, v24
	v_fmac_f32_e32 v14, 0xbee1c552, v9
	v_fma_f32 v16, v16, s4, -v21
	s_movk_i32 s4, 0x15e
	v_fmac_f32_e32 v15, 0xbee1c552, v9
	v_add_f32_e32 v26, v26, v24
	v_add_f32_e32 v27, v27, v11
	v_fmac_f32_e32 v22, 0xbee1c552, v28
	v_fmac_f32_e32 v10, 0xbee1c552, v9
	v_fma_f32 v18, v18, s7, -v4
	v_sub_f32_e32 v7, v13, v14
	v_fma_f32 v6, v8, s5, -v12
	v_add_f32_e32 v9, v14, v13
	v_mad_legacy_u16 v14, v109, s4, v110
	v_add_f32_e32 v17, v5, v24
	v_fmac_f32_e32 v18, 0xbee1c552, v28
	v_fmac_f32_e32 v16, 0xbee1c552, v28
	v_add_f32_e32 v8, v6, v11
	v_sub_f32_e32 v13, v26, v15
	v_add_f32_e32 v12, v22, v27
	v_lshlrev_b32_e32 v14, 3, v14
	v_add_f32_e32 v3, v15, v26
	v_sub_f32_e32 v2, v27, v22
	v_add_f32_e32 v5, v10, v17
	v_sub_f32_e32 v4, v20, v18
	;; [unrolled: 2-line block ×3, first 2 shown]
	v_sub_f32_e32 v11, v17, v10
	v_add_f32_e32 v10, v18, v20
	ds_write2_b64 v14, v[0:1], v[12:13] offset1:50
	ds_write2_b64 v14, v[10:11], v[8:9] offset0:100 offset1:150
	ds_write2_b64 v14, v[6:7], v[4:5] offset0:200 offset1:250
	ds_write_b64 v14, v[2:3] offset:2400
.LBB0_9:
	s_or_b64 exec, exec, s[0:1]
	v_add_u32_e32 v22, 0xa00, v106
	s_waitcnt lgkmcnt(0)
	s_barrier
	ds_read2_b64 v[4:7], v22 offset0:30 offset1:205
	v_add_u32_e32 v23, 0x1400, v106
	ds_read2_b64 v[8:11], v23 offset0:60 offset1:235
	v_add_u32_e32 v24, 0x2000, v106
	;; [unrolled: 2-line block ×3, first 2 shown]
	ds_read2_b64 v[16:19], v25 offset0:56 offset1:231
	s_waitcnt lgkmcnt(3)
	v_mul_f32_e32 v26, v65, v5
	ds_read2_b64 v[0:3], v106 offset1:175
	v_fmac_f32_e32 v26, v64, v4
	v_mul_f32_e32 v4, v65, v4
	v_fma_f32 v27, v64, v5, -v4
	s_waitcnt lgkmcnt(3)
	v_mul_f32_e32 v4, v67, v8
	v_mul_f32_e32 v28, v67, v9
	v_fma_f32 v29, v66, v9, -v4
	s_waitcnt lgkmcnt(2)
	v_mul_f32_e32 v30, v57, v13
	v_mul_f32_e32 v4, v57, v12
	v_fmac_f32_e32 v28, v66, v8
	v_fmac_f32_e32 v30, v56, v12
	v_fma_f32 v12, v56, v13, -v4
	s_waitcnt lgkmcnt(1)
	v_mul_f32_e32 v4, v59, v16
	v_mul_f32_e32 v9, v59, v17
	v_fma_f32 v13, v58, v17, -v4
	v_mul_f32_e32 v17, v69, v7
	v_add_f32_e32 v5, v28, v30
	v_fmac_f32_e32 v17, v68, v6
	v_mul_f32_e32 v4, v69, v6
	s_waitcnt lgkmcnt(0)
	v_fma_f32 v6, -0.5, v5, v0
	v_fmac_f32_e32 v9, v58, v16
	v_fma_f32 v31, v68, v7, -v4
	v_mul_f32_e32 v32, v71, v11
	v_mul_f32_e32 v4, v71, v10
	v_sub_f32_e32 v5, v27, v13
	v_mov_b32_e32 v8, v6
	v_fmac_f32_e32 v32, v70, v10
	v_fma_f32 v33, v70, v11, -v4
	v_fmac_f32_e32 v8, 0xbf737871, v5
	v_sub_f32_e32 v7, v29, v12
	v_sub_f32_e32 v10, v26, v28
	v_sub_f32_e32 v11, v9, v30
	v_fmac_f32_e32 v6, 0x3f737871, v5
	v_mul_f32_e32 v4, v61, v14
	v_fmac_f32_e32 v8, 0xbf167918, v7
	v_add_f32_e32 v10, v10, v11
	v_fmac_f32_e32 v6, 0x3f167918, v7
	v_fma_f32 v35, v60, v15, -v4
	v_mul_f32_e32 v4, v63, v18
	v_fmac_f32_e32 v8, 0x3e9e377a, v10
	v_fmac_f32_e32 v6, 0x3e9e377a, v10
	v_add_f32_e32 v10, v26, v9
	v_fma_f32 v37, v62, v19, -v4
	v_add_f32_e32 v4, v0, v26
	v_fma_f32 v0, -0.5, v10, v0
	v_mov_b32_e32 v10, v0
	v_mul_f32_e32 v34, v61, v15
	v_add_f32_e32 v4, v4, v28
	v_fmac_f32_e32 v10, 0x3f737871, v7
	v_fmac_f32_e32 v0, 0xbf737871, v7
	v_add_f32_e32 v7, v29, v12
	v_fmac_f32_e32 v34, v60, v14
	v_add_f32_e32 v4, v4, v30
	v_sub_f32_e32 v11, v28, v26
	v_sub_f32_e32 v14, v30, v9
	v_fma_f32 v7, -0.5, v7, v1
	v_add_f32_e32 v4, v4, v9
	v_fmac_f32_e32 v10, 0xbf167918, v5
	v_add_f32_e32 v11, v11, v14
	v_fmac_f32_e32 v0, 0x3f167918, v5
	v_sub_f32_e32 v14, v26, v9
	v_mov_b32_e32 v9, v7
	v_fmac_f32_e32 v10, 0x3e9e377a, v11
	v_fmac_f32_e32 v0, 0x3e9e377a, v11
	;; [unrolled: 1-line block ×3, first 2 shown]
	v_sub_f32_e32 v15, v28, v30
	v_sub_f32_e32 v11, v27, v29
	;; [unrolled: 1-line block ×3, first 2 shown]
	v_fmac_f32_e32 v7, 0xbf737871, v14
	v_fmac_f32_e32 v9, 0x3f167918, v15
	v_add_f32_e32 v11, v11, v16
	v_fmac_f32_e32 v7, 0xbf167918, v15
	v_add_f32_e32 v5, v1, v27
	v_fmac_f32_e32 v9, 0x3e9e377a, v11
	v_fmac_f32_e32 v7, 0x3e9e377a, v11
	v_add_f32_e32 v11, v27, v13
	v_add_f32_e32 v5, v5, v29
	v_fma_f32 v1, -0.5, v11, v1
	v_add_f32_e32 v5, v5, v12
	v_mov_b32_e32 v11, v1
	v_add_f32_e32 v5, v5, v13
	v_fmac_f32_e32 v11, 0xbf737871, v15
	v_sub_f32_e32 v12, v12, v13
	v_fmac_f32_e32 v1, 0x3f737871, v15
	v_add_f32_e32 v13, v32, v34
	v_mul_f32_e32 v36, v63, v19
	v_fmac_f32_e32 v11, 0x3f167918, v14
	v_sub_f32_e32 v16, v29, v27
	v_fmac_f32_e32 v1, 0xbf167918, v14
	v_fma_f32 v14, -0.5, v13, v2
	v_fmac_f32_e32 v36, v62, v18
	v_add_f32_e32 v12, v16, v12
	v_sub_f32_e32 v13, v31, v37
	v_mov_b32_e32 v16, v14
	v_fmac_f32_e32 v16, 0xbf737871, v13
	v_sub_f32_e32 v15, v33, v35
	v_sub_f32_e32 v18, v17, v32
	;; [unrolled: 1-line block ×3, first 2 shown]
	v_fmac_f32_e32 v14, 0x3f737871, v13
	v_fmac_f32_e32 v16, 0xbf167918, v15
	v_add_f32_e32 v18, v18, v19
	v_fmac_f32_e32 v14, 0x3f167918, v15
	v_fmac_f32_e32 v16, 0x3e9e377a, v18
	;; [unrolled: 1-line block ×3, first 2 shown]
	v_add_f32_e32 v18, v17, v36
	v_fmac_f32_e32 v11, 0x3e9e377a, v12
	v_fmac_f32_e32 v1, 0x3e9e377a, v12
	v_add_f32_e32 v12, v2, v17
	v_fma_f32 v2, -0.5, v18, v2
	v_mov_b32_e32 v18, v2
	v_fmac_f32_e32 v18, 0x3f737871, v15
	v_fmac_f32_e32 v2, 0xbf737871, v15
	v_add_f32_e32 v15, v33, v35
	v_sub_f32_e32 v19, v32, v17
	v_sub_f32_e32 v26, v34, v36
	v_fma_f32 v15, -0.5, v15, v3
	v_fmac_f32_e32 v18, 0xbf167918, v13
	v_add_f32_e32 v19, v19, v26
	v_fmac_f32_e32 v2, 0x3f167918, v13
	v_sub_f32_e32 v26, v17, v36
	v_mov_b32_e32 v17, v15
	v_fmac_f32_e32 v18, 0x3e9e377a, v19
	v_fmac_f32_e32 v2, 0x3e9e377a, v19
	;; [unrolled: 1-line block ×3, first 2 shown]
	v_sub_f32_e32 v27, v32, v34
	v_sub_f32_e32 v19, v31, v33
	;; [unrolled: 1-line block ×3, first 2 shown]
	v_fmac_f32_e32 v15, 0xbf737871, v26
	v_fmac_f32_e32 v17, 0x3f167918, v27
	v_add_f32_e32 v19, v19, v28
	v_fmac_f32_e32 v15, 0xbf167918, v27
	v_fmac_f32_e32 v17, 0x3e9e377a, v19
	;; [unrolled: 1-line block ×3, first 2 shown]
	v_add_f32_e32 v19, v31, v37
	v_add_f32_e32 v13, v3, v31
	v_fmac_f32_e32 v3, -0.5, v19
	v_mov_b32_e32 v19, v3
	v_sub_f32_e32 v28, v33, v31
	v_sub_f32_e32 v29, v35, v37
	v_fmac_f32_e32 v3, 0x3f737871, v27
	v_add_f32_e32 v12, v12, v32
	v_add_f32_e32 v13, v13, v33
	v_fmac_f32_e32 v19, 0xbf737871, v27
	v_add_f32_e32 v28, v28, v29
	v_fmac_f32_e32 v3, 0xbf167918, v26
	v_mad_u64_u32 v[20:21], s[0:1], s10, v88, 0
	v_add_f32_e32 v12, v12, v34
	v_add_f32_e32 v13, v13, v35
	v_fmac_f32_e32 v19, 0x3f167918, v26
	v_fmac_f32_e32 v3, 0x3e9e377a, v28
	v_add_f32_e32 v12, v12, v36
	v_add_f32_e32 v13, v13, v37
	v_fmac_f32_e32 v19, 0x3e9e377a, v28
	ds_write_b64 v106, v[8:9] offset:2800
	ds_write_b64 v106, v[10:11] offset:5600
	;; [unrolled: 1-line block ×4, first 2 shown]
	ds_write2_b64 v106, v[4:5], v[12:13] offset1:175
	ds_write_b64 v106, v[16:17] offset:4200
	ds_write_b64 v106, v[18:19] offset:7000
	;; [unrolled: 1-line block ×4, first 2 shown]
	s_waitcnt lgkmcnt(0)
	s_barrier
	ds_read2_b64 v[0:3], v106 offset1:175
	v_mov_b32_e32 v4, v21
	v_mad_u64_u32 v[4:5], s[0:1], s11, v88, v[4:5]
	s_mov_b32 s0, 0x835d548e
	s_waitcnt lgkmcnt(0)
	v_mul_f32_e32 v5, v98, v1
	v_fmac_f32_e32 v5, v97, v0
	v_cvt_f64_f32_e32 v[5:6], v5
	s_mov_b32 s1, 0x3f42b97d
	v_mad_u64_u32 v[8:9], s[4:5], s8, v105, 0
	v_mul_f64 v[5:6], v[5:6], s[0:1]
	v_mul_f32_e32 v0, v98, v0
	v_fma_f32 v0, v97, v1, -v0
	v_cvt_f64_f32_e32 v[0:1], v0
	v_mov_b32_e32 v21, v4
	v_mov_b32_e32 v4, v9
	v_mov_b32_e32 v14, s3
	v_mul_f64 v[0:1], v[0:1], s[0:1]
	v_mad_u64_u32 v[9:10], s[4:5], s9, v105, v[4:5]
	v_cvt_f32_f64_e32 v10, v[5:6]
	ds_read2_b64 v[4:7], v23 offset0:60 offset1:235
	v_lshlrev_b64 v[8:9], 3, v[8:9]
	s_mul_hi_u32 s3, s8, 0x1b58
	s_mul_hi_u32 s5, s8, 0xffffea20
	v_cvt_f32_f64_e32 v11, v[0:1]
	s_waitcnt lgkmcnt(0)
	v_mul_f32_e32 v12, v96, v7
	v_fmac_f32_e32 v12, v95, v6
	v_mul_f32_e32 v6, v96, v6
	v_fma_f32 v6, v95, v7, -v6
	v_cvt_f64_f32_e32 v[12:13], v12
	v_cvt_f64_f32_e32 v[6:7], v6
	v_lshlrev_b64 v[0:1], 3, v[20:21]
	s_mul_i32 s4, s9, 0xffffea20
	v_add_co_u32_e32 v15, vcc, s2, v0
	v_addc_co_u32_e32 v14, vcc, v14, v1, vcc
	v_mul_f64 v[0:1], v[12:13], s[0:1]
	v_mul_f64 v[6:7], v[6:7], s[0:1]
	v_add_co_u32_e32 v8, vcc, v15, v8
	s_mul_i32 s2, s9, 0x1b58
	v_addc_co_u32_e32 v9, vcc, v14, v9, vcc
	s_add_i32 s2, s3, s2
	v_cvt_f32_f64_e32 v0, v[0:1]
	v_cvt_f32_f64_e32 v1, v[6:7]
	v_mul_f32_e32 v6, v100, v3
	v_fmac_f32_e32 v6, v99, v2
	v_mul_f32_e32 v2, v100, v2
	v_fma_f32 v2, v99, v3, -v2
	v_cvt_f64_f32_e32 v[2:3], v2
	v_cvt_f64_f32_e32 v[6:7], v6
	s_mul_i32 s3, s8, 0x1b58
	global_store_dwordx2 v[8:9], v[10:11], off
	v_mul_f64 v[2:3], v[2:3], s[0:1]
	v_mul_f64 v[6:7], v[6:7], s[0:1]
	v_mov_b32_e32 v10, s2
	v_add_co_u32_e32 v8, vcc, s3, v8
	v_addc_co_u32_e32 v9, vcc, v9, v10, vcc
	global_store_dwordx2 v[8:9], v[0:1], off
	v_cvt_f32_f64_e32 v11, v[2:3]
	ds_read2_b64 v[0:3], v24 offset0:26 offset1:201
	v_cvt_f32_f64_e32 v10, v[6:7]
	s_sub_i32 s5, s5, s8
	s_add_i32 s4, s5, s4
	s_mul_i32 s5, s8, 0xffffea20
	s_waitcnt lgkmcnt(0)
	v_mul_f32_e32 v6, v92, v1
	v_fmac_f32_e32 v6, v91, v0
	v_mul_f32_e32 v0, v92, v0
	v_fma_f32 v0, v91, v1, -v0
	v_cvt_f64_f32_e32 v[0:1], v0
	v_cvt_f64_f32_e32 v[6:7], v6
	v_mov_b32_e32 v15, s4
	v_add_co_u32_e32 v14, vcc, s5, v8
	v_mul_f64 v[0:1], v[0:1], s[0:1]
	v_mul_f64 v[12:13], v[6:7], s[0:1]
	v_addc_co_u32_e32 v15, vcc, v9, v15, vcc
	ds_read2_b64 v[6:9], v22 offset0:30 offset1:205
	global_store_dwordx2 v[14:15], v[10:11], off
	v_cvt_f32_f64_e32 v11, v[0:1]
	s_waitcnt lgkmcnt(0)
	v_mul_f32_e32 v0, v90, v7
	v_fmac_f32_e32 v0, v89, v6
	v_mul_f32_e32 v6, v90, v6
	v_fma_f32 v6, v89, v7, -v6
	v_cvt_f64_f32_e32 v[0:1], v0
	v_cvt_f64_f32_e32 v[6:7], v6
	v_cvt_f32_f64_e32 v10, v[12:13]
	v_mov_b32_e32 v13, s2
	v_add_co_u32_e32 v12, vcc, s3, v14
	v_addc_co_u32_e32 v13, vcc, v15, v13, vcc
	v_mul_f64 v[0:1], v[0:1], s[0:1]
	v_mul_f64 v[6:7], v[6:7], s[0:1]
	global_store_dwordx2 v[12:13], v[10:11], off
	v_mul_f32_e32 v10, v94, v3
	v_fmac_f32_e32 v10, v93, v2
	v_mul_f32_e32 v2, v94, v2
	v_fma_f32 v2, v93, v3, -v2
	v_cvt_f64_f32_e32 v[10:11], v10
	v_cvt_f64_f32_e32 v[2:3], v2
	v_cvt_f32_f64_e32 v0, v[0:1]
	v_cvt_f32_f64_e32 v1, v[6:7]
	v_mul_f64 v[6:7], v[10:11], s[0:1]
	v_mul_f64 v[2:3], v[2:3], s[0:1]
	v_mov_b32_e32 v11, s4
	v_add_co_u32_e32 v10, vcc, s5, v12
	v_addc_co_u32_e32 v11, vcc, v13, v11, vcc
	global_store_dwordx2 v[10:11], v[0:1], off
	v_mul_f32_e32 v0, v87, v9
	v_fmac_f32_e32 v0, v86, v8
	v_cvt_f64_f32_e32 v[12:13], v0
	v_mul_f32_e32 v0, v87, v8
	v_fma_f32 v0, v86, v9, -v0
	v_cvt_f32_f64_e32 v6, v[6:7]
	v_cvt_f32_f64_e32 v7, v[2:3]
	v_cvt_f64_f32_e32 v[8:9], v0
	ds_read2_b64 v[0:3], v25 offset0:56 offset1:231
	v_mov_b32_e32 v14, s2
	v_add_co_u32_e32 v10, vcc, s3, v10
	v_addc_co_u32_e32 v11, vcc, v11, v14, vcc
	global_store_dwordx2 v[10:11], v[6:7], off
	v_mul_f64 v[6:7], v[12:13], s[0:1]
	s_waitcnt lgkmcnt(0)
	v_mul_f32_e32 v12, v85, v1
	v_fmac_f32_e32 v12, v84, v0
	v_mul_f32_e32 v0, v85, v0
	v_fma_f32 v0, v84, v1, -v0
	v_mul_f64 v[8:9], v[8:9], s[0:1]
	v_cvt_f64_f32_e32 v[0:1], v0
	v_cvt_f64_f32_e32 v[12:13], v12
	v_cvt_f32_f64_e32 v6, v[6:7]
	v_add_co_u32_e32 v10, vcc, s5, v10
	v_mul_f64 v[0:1], v[0:1], s[0:1]
	v_cvt_f32_f64_e32 v7, v[8:9]
	v_mul_f64 v[8:9], v[12:13], s[0:1]
	v_mov_b32_e32 v12, s4
	v_addc_co_u32_e32 v11, vcc, v11, v12, vcc
	global_store_dwordx2 v[10:11], v[6:7], off
	v_cvt_f32_f64_e32 v7, v[0:1]
	v_mul_f32_e32 v0, v83, v5
	v_fmac_f32_e32 v0, v82, v4
	v_mul_f32_e32 v4, v83, v4
	v_fma_f32 v4, v82, v5, -v4
	v_cvt_f64_f32_e32 v[0:1], v0
	v_cvt_f64_f32_e32 v[4:5], v4
	v_cvt_f32_f64_e32 v6, v[8:9]
	v_mov_b32_e32 v9, s2
	v_add_co_u32_e32 v8, vcc, s3, v10
	v_addc_co_u32_e32 v9, vcc, v11, v9, vcc
	v_mul_f64 v[0:1], v[0:1], s[0:1]
	v_mul_f64 v[4:5], v[4:5], s[0:1]
	global_store_dwordx2 v[8:9], v[6:7], off
	v_mul_f32_e32 v6, v81, v3
	v_fmac_f32_e32 v6, v80, v2
	v_mul_f32_e32 v2, v81, v2
	v_fma_f32 v2, v80, v3, -v2
	v_cvt_f64_f32_e32 v[6:7], v6
	v_cvt_f64_f32_e32 v[2:3], v2
	v_cvt_f32_f64_e32 v0, v[0:1]
	v_cvt_f32_f64_e32 v1, v[4:5]
	v_mul_f64 v[4:5], v[6:7], s[0:1]
	v_mul_f64 v[2:3], v[2:3], s[0:1]
	v_mov_b32_e32 v7, s4
	v_add_co_u32_e32 v6, vcc, s5, v8
	v_addc_co_u32_e32 v7, vcc, v9, v7, vcc
	global_store_dwordx2 v[6:7], v[0:1], off
	v_cvt_f32_f64_e32 v0, v[4:5]
	v_cvt_f32_f64_e32 v1, v[2:3]
	v_mov_b32_e32 v3, s2
	v_add_co_u32_e32 v2, vcc, s3, v6
	v_addc_co_u32_e32 v3, vcc, v7, v3, vcc
	global_store_dwordx2 v[2:3], v[0:1], off
.LBB0_10:
	s_endpgm
	.section	.rodata,"a",@progbits
	.p2align	6, 0x0
	.amdhsa_kernel bluestein_single_back_len1750_dim1_sp_op_CI_CI
		.amdhsa_group_segment_fixed_size 14000
		.amdhsa_private_segment_fixed_size 0
		.amdhsa_kernarg_size 104
		.amdhsa_user_sgpr_count 6
		.amdhsa_user_sgpr_private_segment_buffer 1
		.amdhsa_user_sgpr_dispatch_ptr 0
		.amdhsa_user_sgpr_queue_ptr 0
		.amdhsa_user_sgpr_kernarg_segment_ptr 1
		.amdhsa_user_sgpr_dispatch_id 0
		.amdhsa_user_sgpr_flat_scratch_init 0
		.amdhsa_user_sgpr_private_segment_size 0
		.amdhsa_uses_dynamic_stack 0
		.amdhsa_system_sgpr_private_segment_wavefront_offset 0
		.amdhsa_system_sgpr_workgroup_id_x 1
		.amdhsa_system_sgpr_workgroup_id_y 0
		.amdhsa_system_sgpr_workgroup_id_z 0
		.amdhsa_system_sgpr_workgroup_info 0
		.amdhsa_system_vgpr_workitem_id 0
		.amdhsa_next_free_vgpr 157
		.amdhsa_next_free_sgpr 20
		.amdhsa_reserve_vcc 1
		.amdhsa_reserve_flat_scratch 0
		.amdhsa_float_round_mode_32 0
		.amdhsa_float_round_mode_16_64 0
		.amdhsa_float_denorm_mode_32 3
		.amdhsa_float_denorm_mode_16_64 3
		.amdhsa_dx10_clamp 1
		.amdhsa_ieee_mode 1
		.amdhsa_fp16_overflow 0
		.amdhsa_exception_fp_ieee_invalid_op 0
		.amdhsa_exception_fp_denorm_src 0
		.amdhsa_exception_fp_ieee_div_zero 0
		.amdhsa_exception_fp_ieee_overflow 0
		.amdhsa_exception_fp_ieee_underflow 0
		.amdhsa_exception_fp_ieee_inexact 0
		.amdhsa_exception_int_div_zero 0
	.end_amdhsa_kernel
	.text
.Lfunc_end0:
	.size	bluestein_single_back_len1750_dim1_sp_op_CI_CI, .Lfunc_end0-bluestein_single_back_len1750_dim1_sp_op_CI_CI
                                        ; -- End function
	.section	.AMDGPU.csdata,"",@progbits
; Kernel info:
; codeLenInByte = 12012
; NumSgprs: 24
; NumVgprs: 157
; ScratchSize: 0
; MemoryBound: 0
; FloatMode: 240
; IeeeMode: 1
; LDSByteSize: 14000 bytes/workgroup (compile time only)
; SGPRBlocks: 2
; VGPRBlocks: 39
; NumSGPRsForWavesPerEU: 24
; NumVGPRsForWavesPerEU: 157
; Occupancy: 1
; WaveLimiterHint : 1
; COMPUTE_PGM_RSRC2:SCRATCH_EN: 0
; COMPUTE_PGM_RSRC2:USER_SGPR: 6
; COMPUTE_PGM_RSRC2:TRAP_HANDLER: 0
; COMPUTE_PGM_RSRC2:TGID_X_EN: 1
; COMPUTE_PGM_RSRC2:TGID_Y_EN: 0
; COMPUTE_PGM_RSRC2:TGID_Z_EN: 0
; COMPUTE_PGM_RSRC2:TIDIG_COMP_CNT: 0
	.type	__hip_cuid_9542beb1e8b31fe9,@object ; @__hip_cuid_9542beb1e8b31fe9
	.section	.bss,"aw",@nobits
	.globl	__hip_cuid_9542beb1e8b31fe9
__hip_cuid_9542beb1e8b31fe9:
	.byte	0                               ; 0x0
	.size	__hip_cuid_9542beb1e8b31fe9, 1

	.ident	"AMD clang version 19.0.0git (https://github.com/RadeonOpenCompute/llvm-project roc-6.4.0 25133 c7fe45cf4b819c5991fe208aaa96edf142730f1d)"
	.section	".note.GNU-stack","",@progbits
	.addrsig
	.addrsig_sym __hip_cuid_9542beb1e8b31fe9
	.amdgpu_metadata
---
amdhsa.kernels:
  - .args:
      - .actual_access:  read_only
        .address_space:  global
        .offset:         0
        .size:           8
        .value_kind:     global_buffer
      - .actual_access:  read_only
        .address_space:  global
        .offset:         8
        .size:           8
        .value_kind:     global_buffer
      - .actual_access:  read_only
        .address_space:  global
        .offset:         16
        .size:           8
        .value_kind:     global_buffer
      - .actual_access:  read_only
        .address_space:  global
        .offset:         24
        .size:           8
        .value_kind:     global_buffer
      - .actual_access:  read_only
        .address_space:  global
        .offset:         32
        .size:           8
        .value_kind:     global_buffer
      - .offset:         40
        .size:           8
        .value_kind:     by_value
      - .address_space:  global
        .offset:         48
        .size:           8
        .value_kind:     global_buffer
      - .address_space:  global
        .offset:         56
        .size:           8
        .value_kind:     global_buffer
      - .address_space:  global
        .offset:         64
        .size:           8
        .value_kind:     global_buffer
      - .address_space:  global
        .offset:         72
        .size:           8
        .value_kind:     global_buffer
      - .offset:         80
        .size:           4
        .value_kind:     by_value
      - .address_space:  global
        .offset:         88
        .size:           8
        .value_kind:     global_buffer
      - .address_space:  global
        .offset:         96
        .size:           8
        .value_kind:     global_buffer
    .group_segment_fixed_size: 14000
    .kernarg_segment_align: 8
    .kernarg_segment_size: 104
    .language:       OpenCL C
    .language_version:
      - 2
      - 0
    .max_flat_workgroup_size: 175
    .name:           bluestein_single_back_len1750_dim1_sp_op_CI_CI
    .private_segment_fixed_size: 0
    .sgpr_count:     24
    .sgpr_spill_count: 0
    .symbol:         bluestein_single_back_len1750_dim1_sp_op_CI_CI.kd
    .uniform_work_group_size: 1
    .uses_dynamic_stack: false
    .vgpr_count:     157
    .vgpr_spill_count: 0
    .wavefront_size: 64
amdhsa.target:   amdgcn-amd-amdhsa--gfx906
amdhsa.version:
  - 1
  - 2
...

	.end_amdgpu_metadata
